;; amdgpu-corpus repo=ROCm/rocFFT kind=compiled arch=gfx950 opt=O3
	.text
	.amdgcn_target "amdgcn-amd-amdhsa--gfx950"
	.amdhsa_code_object_version 6
	.protected	fft_rtc_fwd_len1428_factors_17_2_7_6_wgs_119_tpt_119_halfLds_dp_op_CI_CI_unitstride_sbrr_C2R_dirReg ; -- Begin function fft_rtc_fwd_len1428_factors_17_2_7_6_wgs_119_tpt_119_halfLds_dp_op_CI_CI_unitstride_sbrr_C2R_dirReg
	.globl	fft_rtc_fwd_len1428_factors_17_2_7_6_wgs_119_tpt_119_halfLds_dp_op_CI_CI_unitstride_sbrr_C2R_dirReg
	.p2align	8
	.type	fft_rtc_fwd_len1428_factors_17_2_7_6_wgs_119_tpt_119_halfLds_dp_op_CI_CI_unitstride_sbrr_C2R_dirReg,@function
fft_rtc_fwd_len1428_factors_17_2_7_6_wgs_119_tpt_119_halfLds_dp_op_CI_CI_unitstride_sbrr_C2R_dirReg: ; @fft_rtc_fwd_len1428_factors_17_2_7_6_wgs_119_tpt_119_halfLds_dp_op_CI_CI_unitstride_sbrr_C2R_dirReg
; %bb.0:
	s_load_dwordx4 s[4:7], s[0:1], 0x58
	s_load_dwordx4 s[8:11], s[0:1], 0x0
	;; [unrolled: 1-line block ×3, first 2 shown]
	v_mul_u32_u24_e32 v1, 0x227, v0
	v_add_u32_sdwa v6, s2, v1 dst_sel:DWORD dst_unused:UNUSED_PAD src0_sel:DWORD src1_sel:WORD_1
	v_mov_b32_e32 v4, 0
	s_waitcnt lgkmcnt(0)
	v_cmp_lt_u64_e64 s[2:3], s[10:11], 2
	v_mov_b32_e32 v7, v4
	s_and_b64 vcc, exec, s[2:3]
	v_mov_b64_e32 v[2:3], 0
	s_cbranch_vccnz .LBB0_8
; %bb.1:
	s_load_dwordx2 s[2:3], s[0:1], 0x10
	s_add_u32 s16, s14, 8
	s_addc_u32 s17, s15, 0
	s_add_u32 s18, s12, 8
	s_addc_u32 s19, s13, 0
	s_waitcnt lgkmcnt(0)
	s_add_u32 s20, s2, 8
	v_mov_b64_e32 v[2:3], 0
	s_addc_u32 s21, s3, 0
	s_mov_b64 s[22:23], 1
	v_mov_b64_e32 v[120:121], v[2:3]
.LBB0_2:                                ; =>This Inner Loop Header: Depth=1
	s_load_dwordx2 s[24:25], s[20:21], 0x0
                                        ; implicit-def: $vgpr122_vgpr123
	s_waitcnt lgkmcnt(0)
	v_or_b32_e32 v5, s25, v7
	v_cmp_ne_u64_e32 vcc, 0, v[4:5]
	s_and_saveexec_b64 s[2:3], vcc
	s_xor_b64 s[26:27], exec, s[2:3]
	s_cbranch_execz .LBB0_4
; %bb.3:                                ;   in Loop: Header=BB0_2 Depth=1
	v_cvt_f32_u32_e32 v1, s24
	v_cvt_f32_u32_e32 v5, s25
	s_sub_u32 s2, 0, s24
	s_subb_u32 s3, 0, s25
	v_fmac_f32_e32 v1, 0x4f800000, v5
	v_rcp_f32_e32 v1, v1
	s_nop 0
	v_mul_f32_e32 v1, 0x5f7ffffc, v1
	v_mul_f32_e32 v5, 0x2f800000, v1
	v_trunc_f32_e32 v5, v5
	v_fmac_f32_e32 v1, 0xcf800000, v5
	v_cvt_u32_f32_e32 v5, v5
	v_cvt_u32_f32_e32 v1, v1
	v_mul_lo_u32 v8, s2, v5
	v_mul_hi_u32 v10, s2, v1
	v_mul_lo_u32 v9, s3, v1
	v_add_u32_e32 v10, v10, v8
	v_mul_lo_u32 v12, s2, v1
	v_add_u32_e32 v13, v10, v9
	v_mul_hi_u32 v8, v1, v12
	v_mul_hi_u32 v11, v1, v13
	v_mul_lo_u32 v10, v1, v13
	v_mov_b32_e32 v9, v4
	v_lshl_add_u64 v[8:9], v[8:9], 0, v[10:11]
	v_mul_hi_u32 v11, v5, v12
	v_mul_lo_u32 v12, v5, v12
	v_add_co_u32_e32 v8, vcc, v8, v12
	v_mul_hi_u32 v10, v5, v13
	s_nop 0
	v_addc_co_u32_e32 v8, vcc, v9, v11, vcc
	v_mov_b32_e32 v9, v4
	s_nop 0
	v_addc_co_u32_e32 v11, vcc, 0, v10, vcc
	v_mul_lo_u32 v10, v5, v13
	v_lshl_add_u64 v[8:9], v[8:9], 0, v[10:11]
	v_add_co_u32_e32 v1, vcc, v1, v8
	v_mul_lo_u32 v10, s2, v1
	s_nop 0
	v_addc_co_u32_e32 v5, vcc, v5, v9, vcc
	v_mul_lo_u32 v8, s2, v5
	v_mul_hi_u32 v9, s2, v1
	v_add_u32_e32 v8, v9, v8
	v_mul_lo_u32 v9, s3, v1
	v_add_u32_e32 v12, v8, v9
	v_mul_hi_u32 v14, v5, v10
	v_mul_lo_u32 v15, v5, v10
	v_mul_hi_u32 v9, v1, v12
	v_mul_lo_u32 v8, v1, v12
	v_mul_hi_u32 v10, v1, v10
	v_mov_b32_e32 v11, v4
	v_lshl_add_u64 v[8:9], v[10:11], 0, v[8:9]
	v_add_co_u32_e32 v8, vcc, v8, v15
	v_mul_hi_u32 v13, v5, v12
	s_nop 0
	v_addc_co_u32_e32 v8, vcc, v9, v14, vcc
	v_mul_lo_u32 v10, v5, v12
	s_nop 0
	v_addc_co_u32_e32 v11, vcc, 0, v13, vcc
	v_mov_b32_e32 v9, v4
	v_lshl_add_u64 v[8:9], v[8:9], 0, v[10:11]
	v_add_co_u32_e32 v1, vcc, v1, v8
	v_mul_hi_u32 v10, v6, v1
	s_nop 0
	v_addc_co_u32_e32 v5, vcc, v5, v9, vcc
	v_mad_u64_u32 v[8:9], s[2:3], v6, v5, 0
	v_mov_b32_e32 v11, v4
	v_lshl_add_u64 v[8:9], v[10:11], 0, v[8:9]
	v_mad_u64_u32 v[12:13], s[2:3], v7, v1, 0
	v_add_co_u32_e32 v1, vcc, v8, v12
	v_mad_u64_u32 v[10:11], s[2:3], v7, v5, 0
	s_nop 0
	v_addc_co_u32_e32 v8, vcc, v9, v13, vcc
	v_mov_b32_e32 v9, v4
	s_nop 0
	v_addc_co_u32_e32 v11, vcc, 0, v11, vcc
	v_lshl_add_u64 v[8:9], v[8:9], 0, v[10:11]
	v_mul_lo_u32 v1, s25, v8
	v_mul_lo_u32 v5, s24, v9
	v_mad_u64_u32 v[10:11], s[2:3], s24, v8, 0
	v_add3_u32 v1, v11, v5, v1
	v_sub_u32_e32 v5, v7, v1
	v_mov_b32_e32 v11, s25
	v_sub_co_u32_e32 v14, vcc, v6, v10
	v_lshl_add_u64 v[12:13], v[8:9], 0, 1
	s_nop 0
	v_subb_co_u32_e64 v5, s[2:3], v5, v11, vcc
	v_subrev_co_u32_e64 v10, s[2:3], s24, v14
	v_subb_co_u32_e32 v1, vcc, v7, v1, vcc
	s_nop 0
	v_subbrev_co_u32_e64 v5, s[2:3], 0, v5, s[2:3]
	v_cmp_le_u32_e64 s[2:3], s25, v5
	v_cmp_le_u32_e32 vcc, s25, v1
	s_nop 0
	v_cndmask_b32_e64 v11, 0, -1, s[2:3]
	v_cmp_le_u32_e64 s[2:3], s24, v10
	s_nop 1
	v_cndmask_b32_e64 v10, 0, -1, s[2:3]
	v_cmp_eq_u32_e64 s[2:3], s25, v5
	s_nop 1
	v_cndmask_b32_e64 v5, v11, v10, s[2:3]
	v_lshl_add_u64 v[10:11], v[8:9], 0, 2
	v_cmp_ne_u32_e64 s[2:3], 0, v5
	s_nop 1
	v_cndmask_b32_e64 v5, v13, v11, s[2:3]
	v_cndmask_b32_e64 v11, 0, -1, vcc
	v_cmp_le_u32_e32 vcc, s24, v14
	s_nop 1
	v_cndmask_b32_e64 v13, 0, -1, vcc
	v_cmp_eq_u32_e32 vcc, s25, v1
	s_nop 1
	v_cndmask_b32_e32 v1, v11, v13, vcc
	v_cmp_ne_u32_e32 vcc, 0, v1
	v_cndmask_b32_e64 v1, v12, v10, s[2:3]
	s_nop 0
	v_cndmask_b32_e32 v123, v9, v5, vcc
	v_cndmask_b32_e32 v122, v8, v1, vcc
.LBB0_4:                                ;   in Loop: Header=BB0_2 Depth=1
	s_andn2_saveexec_b64 s[2:3], s[26:27]
	s_cbranch_execz .LBB0_6
; %bb.5:                                ;   in Loop: Header=BB0_2 Depth=1
	v_cvt_f32_u32_e32 v1, s24
	s_sub_i32 s26, 0, s24
	v_mov_b32_e32 v123, v4
	v_rcp_iflag_f32_e32 v1, v1
	s_nop 0
	v_mul_f32_e32 v1, 0x4f7ffffe, v1
	v_cvt_u32_f32_e32 v1, v1
	v_mul_lo_u32 v5, s26, v1
	v_mul_hi_u32 v5, v1, v5
	v_add_u32_e32 v1, v1, v5
	v_mul_hi_u32 v1, v6, v1
	v_mul_lo_u32 v5, v1, s24
	v_sub_u32_e32 v5, v6, v5
	v_add_u32_e32 v8, 1, v1
	v_subrev_u32_e32 v9, s24, v5
	v_cmp_le_u32_e32 vcc, s24, v5
	s_nop 1
	v_cndmask_b32_e32 v5, v5, v9, vcc
	v_cndmask_b32_e32 v1, v1, v8, vcc
	v_add_u32_e32 v8, 1, v1
	v_cmp_le_u32_e32 vcc, s24, v5
	s_nop 1
	v_cndmask_b32_e32 v122, v1, v8, vcc
.LBB0_6:                                ;   in Loop: Header=BB0_2 Depth=1
	s_or_b64 exec, exec, s[2:3]
	v_mad_u64_u32 v[8:9], s[2:3], v122, s24, 0
	s_load_dwordx2 s[2:3], s[18:19], 0x0
	v_mul_lo_u32 v1, v123, s24
	v_mul_lo_u32 v5, v122, s25
	s_load_dwordx2 s[24:25], s[16:17], 0x0
	s_add_u32 s22, s22, 1
	v_add3_u32 v1, v9, v5, v1
	v_sub_co_u32_e32 v5, vcc, v6, v8
	s_addc_u32 s23, s23, 0
	s_nop 0
	v_subb_co_u32_e32 v1, vcc, v7, v1, vcc
	s_add_u32 s16, s16, 8
	s_waitcnt lgkmcnt(0)
	v_mul_lo_u32 v6, s2, v1
	v_mul_lo_u32 v7, s3, v5
	v_mad_u64_u32 v[2:3], s[2:3], s2, v5, v[2:3]
	s_addc_u32 s17, s17, 0
	v_add3_u32 v3, v7, v3, v6
	v_mul_lo_u32 v1, s24, v1
	v_mul_lo_u32 v6, s25, v5
	v_mad_u64_u32 v[120:121], s[2:3], s24, v5, v[120:121]
	s_add_u32 s18, s18, 8
	v_add3_u32 v121, v6, v121, v1
	s_addc_u32 s19, s19, 0
	v_mov_b64_e32 v[6:7], s[10:11]
	s_add_u32 s20, s20, 8
	v_cmp_ge_u64_e32 vcc, s[22:23], v[6:7]
	s_addc_u32 s21, s21, 0
	s_cbranch_vccnz .LBB0_9
; %bb.7:                                ;   in Loop: Header=BB0_2 Depth=1
	v_mov_b64_e32 v[6:7], v[122:123]
	s_branch .LBB0_2
.LBB0_8:
	v_mov_b64_e32 v[120:121], v[2:3]
	v_mov_b64_e32 v[122:123], v[6:7]
.LBB0_9:
	s_load_dwordx2 s[18:19], s[0:1], 0x28
	s_lshl_b64 s[16:17], s[10:11], 3
	s_add_u32 s2, s14, s16
	s_addc_u32 s3, s15, s17
                                        ; implicit-def: $vgpr124
	s_waitcnt lgkmcnt(0)
	v_cmp_gt_u64_e64 s[0:1], s[18:19], v[122:123]
	v_cmp_le_u64_e32 vcc, s[18:19], v[122:123]
	s_and_saveexec_b64 s[10:11], vcc
	s_xor_b64 s[10:11], exec, s[10:11]
; %bb.10:
	s_mov_b32 s14, 0x226b903
	v_mul_hi_u32 v1, v0, s14
	v_mul_u32_u24_e32 v1, 0x77, v1
	v_sub_u32_e32 v124, v0, v1
                                        ; implicit-def: $vgpr0
                                        ; implicit-def: $vgpr2_vgpr3
; %bb.11:
	s_or_saveexec_b64 s[10:11], s[10:11]
	s_load_dwordx2 s[2:3], s[2:3], 0x0
	s_xor_b64 exec, exec, s[10:11]
	s_cbranch_execz .LBB0_15
; %bb.12:
	s_add_u32 s12, s12, s16
	s_addc_u32 s13, s13, s17
	s_load_dwordx2 s[12:13], s[12:13], 0x0
	s_mov_b32 s14, 0x226b903
	s_waitcnt lgkmcnt(0)
	v_mul_lo_u32 v1, s13, v122
	v_mul_lo_u32 v6, s12, v123
	v_mad_u64_u32 v[4:5], s[12:13], s12, v122, 0
	v_add3_u32 v5, v5, v6, v1
	v_mul_hi_u32 v1, v0, s14
	v_mul_u32_u24_e32 v1, 0x77, v1
	v_sub_u32_e32 v124, v0, v1
	v_lshl_add_u64 v[0:1], v[4:5], 4, s[4:5]
	v_lshl_add_u64 v[2:3], v[2:3], 4, v[0:1]
	v_lshlrev_b32_e32 v0, 4, v124
	v_mov_b32_e32 v1, 0
	v_lshl_add_u64 v[44:45], v[2:3], 0, v[0:1]
	s_movk_i32 s4, 0x1000
	v_add_co_u32_e32 v28, vcc, s4, v44
	s_movk_i32 s4, 0x2000
	s_nop 0
	v_addc_co_u32_e32 v29, vcc, 0, v45, vcc
	v_add_co_u32_e32 v36, vcc, s4, v44
	s_movk_i32 s4, 0x3000
	s_nop 0
	v_addc_co_u32_e32 v37, vcc, 0, v45, vcc
	;; [unrolled: 4-line block ×3, first 2 shown]
	v_add_co_u32_e32 v52, vcc, s4, v44
	global_load_dwordx4 v[4:7], v[44:45], off
	global_load_dwordx4 v[8:11], v[44:45], off offset:1904
	v_addc_co_u32_e32 v53, vcc, 0, v45, vcc
	v_add_co_u32_e32 v54, vcc, 0x5000, v44
	global_load_dwordx4 v[12:15], v[44:45], off offset:3808
	global_load_dwordx4 v[16:19], v[28:29], off offset:1616
	;; [unrolled: 1-line block ×4, first 2 shown]
	s_nop 0
	global_load_dwordx4 v[28:31], v[36:37], off offset:3232
	global_load_dwordx4 v[32:35], v[46:47], off offset:1040
	s_nop 0
	global_load_dwordx4 v[36:39], v[46:47], off offset:2944
	global_load_dwordx4 v[40:43], v[52:53], off offset:752
	v_addc_co_u32_e32 v55, vcc, 0, v45, vcc
	global_load_dwordx4 v[44:47], v[52:53], off offset:2656
	global_load_dwordx4 v[48:51], v[54:55], off offset:464
	s_movk_i32 s4, 0x76
	v_add_u32_e32 v0, 0, v0
	v_cmp_eq_u32_e32 vcc, s4, v124
	s_waitcnt vmcnt(11)
	ds_write_b128 v0, v[4:7]
	s_waitcnt vmcnt(10)
	ds_write_b128 v0, v[8:11] offset:1904
	s_waitcnt vmcnt(9)
	ds_write_b128 v0, v[12:15] offset:3808
	;; [unrolled: 2-line block ×11, first 2 shown]
	s_and_saveexec_b64 s[4:5], vcc
	s_cbranch_execz .LBB0_14
; %bb.13:
	v_add_co_u32_e32 v2, vcc, 0x5000, v2
	v_mov_b32_e32 v124, 0x76
	s_nop 0
	v_addc_co_u32_e32 v3, vcc, 0, v3, vcc
	global_load_dwordx4 v[2:5], v[2:3], off offset:2368
	s_waitcnt vmcnt(0)
	ds_write_b128 v1, v[2:5] offset:22848
.LBB0_14:
	s_or_b64 exec, exec, s[4:5]
.LBB0_15:
	s_or_b64 exec, exec, s[10:11]
	v_lshlrev_b32_e32 v0, 4, v124
	v_add_u32_e32 v242, 0, v0
	s_waitcnt lgkmcnt(0)
	s_barrier
	v_sub_u32_e32 v10, 0, v0
	ds_read_b64 v[6:7], v242
	ds_read_b64 v[8:9], v10 offset:22848
	s_add_u32 s4, s8, 0x5830
	s_addc_u32 s5, s9, 0
	v_cmp_ne_u32_e32 vcc, 0, v124
                                        ; implicit-def: $vgpr4_vgpr5
	s_waitcnt lgkmcnt(0)
	v_add_f64 v[0:1], v[6:7], v[8:9]
	v_add_f64 v[2:3], v[6:7], -v[8:9]
	s_and_saveexec_b64 s[10:11], vcc
	s_xor_b64 s[10:11], exec, s[10:11]
	s_cbranch_execz .LBB0_17
; %bb.16:
	v_mov_b32_e32 v125, 0
	v_lshl_add_u64 v[0:1], v[124:125], 4, s[4:5]
	global_load_dwordx4 v[12:15], v[0:1], off
	ds_read_b64 v[0:1], v10 offset:22856
	ds_read_b64 v[2:3], v242 offset:8
	v_add_f64 v[4:5], v[6:7], v[8:9]
	v_add_f64 v[8:9], v[6:7], -v[8:9]
	s_waitcnt lgkmcnt(0)
	v_add_f64 v[16:17], v[0:1], v[2:3]
	v_add_f64 v[0:1], v[2:3], -v[0:1]
	s_waitcnt vmcnt(0)
	v_fma_f64 v[18:19], v[8:9], v[14:15], v[4:5]
	v_fma_f64 v[4:5], -v[8:9], v[14:15], v[4:5]
	v_fma_f64 v[6:7], v[16:17], v[14:15], -v[0:1]
	v_fma_f64 v[2:3], v[16:17], v[14:15], v[0:1]
	v_fmac_f64_e32 v[4:5], v[16:17], v[12:13]
	v_fmac_f64_e32 v[6:7], v[8:9], v[12:13]
	v_fma_f64 v[0:1], -v[16:17], v[12:13], v[18:19]
	v_fmac_f64_e32 v[2:3], v[8:9], v[12:13]
	ds_write_b128 v10, v[4:7] offset:22848
	v_mov_b64_e32 v[4:5], v[124:125]
.LBB0_17:
	s_andn2_saveexec_b64 s[10:11], s[10:11]
	s_cbranch_execz .LBB0_19
; %bb.18:
	v_mov_b32_e32 v8, 0
	ds_read_b128 v[4:7], v8 offset:11424
	s_waitcnt lgkmcnt(0)
	v_add_f64 v[4:5], v[4:5], v[4:5]
	v_mul_f64 v[6:7], v[6:7], -2.0
	ds_write_b128 v8, v[4:7] offset:11424
	v_mov_b64_e32 v[4:5], 0
.LBB0_19:
	s_or_b64 exec, exec, s[10:11]
	v_lshl_add_u64 v[4:5], v[4:5], 4, s[4:5]
	global_load_dwordx4 v[4:7], v[4:5], off offset:1904
	v_add_u32_e32 v126, 0xee, v124
	v_mov_b32_e32 v127, 0
	v_lshl_add_u64 v[8:9], v[126:127], 4, s[4:5]
	global_load_dwordx4 v[12:15], v[8:9], off
	v_add_u32_e32 v128, 0x165, v124
	v_mov_b32_e32 v129, v127
	v_lshl_add_u64 v[8:9], v[128:129], 4, s[4:5]
	global_load_dwordx4 v[16:19], v[8:9], off
	;; [unrolled: 4-line block ×3, first 2 shown]
	v_add_u32_e32 v132, 0x253, v124
	v_mov_b32_e32 v133, v127
	ds_write_b128 v242, v[0:3]
	v_lshl_add_u64 v[0:1], v[132:133], 4, s[4:5]
	ds_read_b128 v[24:27], v242 offset:1904
	ds_read_b128 v[28:31], v10 offset:20944
	global_load_dwordx4 v[0:3], v[0:1], off
	v_lshl_add_u32 v125, v126, 4, 0
	v_lshl_add_u32 v129, v128, 4, 0
	;; [unrolled: 1-line block ×3, first 2 shown]
	s_waitcnt lgkmcnt(0)
	v_add_f64 v[32:33], v[24:25], v[28:29]
	v_add_f64 v[34:35], v[30:31], v[26:27]
	v_add_f64 v[28:29], v[24:25], -v[28:29]
	v_add_f64 v[26:27], v[26:27], -v[30:31]
	v_lshl_add_u32 v131, v132, 4, 0
	s_mov_b32 s10, 0xeb564b22
	s_mov_b32 s4, 0x3259b75e
	;; [unrolled: 1-line block ×42, first 2 shown]
	s_movk_i32 s33, 0x54
	v_cmp_gt_u32_e32 vcc, s33, v124
	s_waitcnt vmcnt(4)
	v_fma_f64 v[30:31], v[28:29], v[6:7], v[32:33]
	v_fma_f64 v[8:9], v[34:35], v[6:7], v[26:27]
	v_fma_f64 v[24:25], -v[28:29], v[6:7], v[32:33]
	v_fma_f64 v[26:27], v[34:35], v[6:7], -v[26:27]
	v_fma_f64 v[6:7], -v[34:35], v[4:5], v[30:31]
	v_fmac_f64_e32 v[8:9], v[28:29], v[4:5]
	v_fmac_f64_e32 v[24:25], v[34:35], v[4:5]
	v_fmac_f64_e32 v[26:27], v[28:29], v[4:5]
	ds_write_b128 v242, v[6:9] offset:1904
	ds_write_b128 v10, v[24:27] offset:20944
	ds_read_b128 v[4:7], v125
	ds_read_b128 v[24:27], v10 offset:19040
	s_waitcnt lgkmcnt(0)
	v_add_f64 v[8:9], v[4:5], v[24:25]
	v_add_f64 v[28:29], v[26:27], v[6:7]
	v_add_f64 v[30:31], v[4:5], -v[24:25]
	v_add_f64 v[4:5], v[6:7], -v[26:27]
	s_waitcnt vmcnt(3)
	v_fma_f64 v[32:33], v[30:31], v[14:15], v[8:9]
	v_fma_f64 v[6:7], v[28:29], v[14:15], v[4:5]
	v_fma_f64 v[24:25], -v[30:31], v[14:15], v[8:9]
	v_fma_f64 v[26:27], v[28:29], v[14:15], -v[4:5]
	v_fma_f64 v[4:5], -v[28:29], v[12:13], v[32:33]
	v_fmac_f64_e32 v[6:7], v[30:31], v[12:13]
	v_fmac_f64_e32 v[24:25], v[28:29], v[12:13]
	v_fmac_f64_e32 v[26:27], v[30:31], v[12:13]
	ds_write_b128 v125, v[4:7]
	ds_write_b128 v10, v[24:27] offset:19040
	ds_read_b128 v[4:7], v129
	ds_read_b128 v[12:15], v10 offset:17136
	s_waitcnt lgkmcnt(0)
	v_add_f64 v[8:9], v[4:5], v[12:13]
	v_add_f64 v[24:25], v[14:15], v[6:7]
	v_add_f64 v[26:27], v[4:5], -v[12:13]
	v_add_f64 v[4:5], v[6:7], -v[14:15]
	s_waitcnt vmcnt(2)
	v_fma_f64 v[28:29], v[26:27], v[18:19], v[8:9]
	v_fma_f64 v[6:7], v[24:25], v[18:19], v[4:5]
	v_fma_f64 v[12:13], -v[26:27], v[18:19], v[8:9]
	v_fma_f64 v[14:15], v[24:25], v[18:19], -v[4:5]
	v_fma_f64 v[4:5], -v[24:25], v[16:17], v[28:29]
	v_fmac_f64_e32 v[6:7], v[26:27], v[16:17]
	v_fmac_f64_e32 v[12:13], v[24:25], v[16:17]
	v_fmac_f64_e32 v[14:15], v[26:27], v[16:17]
	ds_write_b128 v129, v[4:7]
	;; [unrolled: 18-line block ×4, first 2 shown]
	ds_write_b128 v10, v[6:9] offset:13328
	s_waitcnt lgkmcnt(0)
	s_barrier
	s_barrier
	ds_read_b128 v[16:19], v242
	ds_read_b128 v[20:23], v242 offset:1344
	ds_read_b128 v[8:11], v242 offset:21504
	;; [unrolled: 1-line block ×6, first 2 shown]
	s_waitcnt lgkmcnt(4)
	v_add_f64 v[144:145], v[22:23], -v[10:11]
	v_add_f64 v[134:135], v[20:21], v[8:9]
	v_mul_f64 v[78:79], v[144:145], s[10:11]
	s_waitcnt lgkmcnt(1)
	v_add_f64 v[146:147], v[26:27], -v[14:15]
	ds_read_b128 v[36:39], v242 offset:17472
	ds_read_b128 v[40:43], v242 offset:5376
	v_add_f64 v[138:139], v[20:21], -v[8:9]
	v_add_f64 v[136:137], v[24:25], v[12:13]
	v_fma_f64 v[0:1], s[4:5], v[134:135], v[78:79]
	v_mul_f64 v[80:81], v[146:147], s[16:17]
	v_add_f64 v[150:151], v[22:23], v[10:11]
	v_add_f64 v[0:1], v[16:17], v[0:1]
	v_fma_f64 v[2:3], s[12:13], v[136:137], v[80:81]
	v_mul_f64 v[84:85], v[138:139], s[10:11]
	v_add_f64 v[142:143], v[24:25], -v[12:13]
	ds_read_b128 v[44:47], v242 offset:6720
	ds_read_b128 v[48:51], v242 offset:16128
	v_add_f64 v[0:1], v[2:3], v[0:1]
	v_fma_f64 v[2:3], v[150:151], s[4:5], -v[84:85]
	v_add_f64 v[156:157], v[26:27], v[14:15]
	v_mul_f64 v[86:87], v[142:143], s[16:17]
	s_waitcnt lgkmcnt(4)
	v_add_f64 v[152:153], v[30:31], -v[34:35]
	v_add_f64 v[2:3], v[18:19], v[2:3]
	v_fma_f64 v[4:5], v[156:157], s[12:13], -v[86:87]
	v_add_f64 v[140:141], v[28:29], v[32:33]
	v_mul_f64 v[82:83], v[152:153], s[24:25]
	v_add_f64 v[148:149], v[28:29], -v[32:33]
	ds_read_b128 v[52:55], v242 offset:14784
	ds_read_b128 v[56:59], v242 offset:8064
	v_add_f64 v[2:3], v[4:5], v[2:3]
	v_fma_f64 v[4:5], s[14:15], v[140:141], v[82:83]
	v_add_f64 v[158:159], v[30:31], v[34:35]
	v_mul_f64 v[88:89], v[148:149], s[24:25]
	s_waitcnt lgkmcnt(4)
	v_add_f64 v[164:165], v[42:43], -v[38:39]
	v_add_f64 v[0:1], v[4:5], v[0:1]
	v_fma_f64 v[4:5], v[158:159], s[14:15], -v[88:89]
	v_add_f64 v[154:155], v[40:41], v[36:37]
	v_mul_f64 v[116:117], v[164:165], s[30:31]
	v_add_f64 v[160:161], v[40:41], -v[36:37]
	ds_read_b128 v[60:63], v242 offset:9408
	ds_read_b128 v[64:67], v242 offset:13440
	v_add_f64 v[2:3], v[4:5], v[2:3]
	v_fma_f64 v[4:5], s[20:21], v[154:155], v[116:117]
	;; [unrolled: 13-line block ×3, first 2 shown]
	v_add_f64 v[176:177], v[46:47], v[50:51]
	v_mul_f64 v[200:201], v[166:167], s[26:27]
	s_waitcnt lgkmcnt(4)
	v_add_f64 v[182:183], v[58:59], -v[54:55]
	v_add_f64 v[0:1], v[4:5], v[0:1]
	v_fma_f64 v[4:5], v[176:177], s[22:23], -v[200:201]
	v_add_f64 v[172:173], v[56:57], v[52:53]
	v_mul_f64 v[202:203], v[182:183], s[36:37]
	v_add_f64 v[178:179], v[56:57], -v[52:53]
	v_add_f64 v[2:3], v[4:5], v[2:3]
	v_fma_f64 v[4:5], s[28:29], v[172:173], v[202:203]
	v_add_f64 v[188:189], v[58:59], v[54:55]
	v_mul_f64 v[206:207], v[178:179], s[36:37]
	s_waitcnt lgkmcnt(2)
	v_add_f64 v[186:187], v[62:63], -v[66:67]
	v_add_f64 v[0:1], v[4:5], v[0:1]
	v_fma_f64 v[4:5], v[188:189], s[28:29], -v[206:207]
	v_add_f64 v[174:175], v[60:61], v[64:65]
	v_mul_f64 v[204:205], v[186:187], s[44:45]
	v_add_f64 v[184:185], v[60:61], -v[64:65]
	v_add_f64 v[2:3], v[4:5], v[2:3]
	v_fma_f64 v[4:5], s[38:39], v[174:175], v[204:205]
	;; [unrolled: 11-line block ×3, first 2 shown]
	v_add_f64 v[196:197], v[70:71], v[74:75]
	v_mul_f64 v[212:213], v[190:191], s[46:47]
	v_add_f64 v[0:1], v[4:5], v[0:1]
	v_fma_f64 v[4:5], v[196:197], s[42:43], -v[212:213]
	v_mul_f64 v[100:101], v[144:145], s[18:19]
	v_add_f64 v[2:3], v[4:5], v[2:3]
	v_fma_f64 v[4:5], s[14:15], v[134:135], v[100:101]
	v_mul_f64 v[102:103], v[146:147], s[40:41]
	v_add_f64 v[4:5], v[16:17], v[4:5]
	v_fma_f64 v[6:7], s[28:29], v[136:137], v[102:103]
	v_mul_f64 v[222:223], v[138:139], s[18:19]
	v_add_f64 v[4:5], v[6:7], v[4:5]
	v_fma_f64 v[6:7], v[150:151], s[14:15], -v[222:223]
	v_mul_f64 v[226:227], v[142:143], s[40:41]
	v_add_f64 v[6:7], v[18:19], v[6:7]
	v_fma_f64 v[76:77], v[156:157], s[28:29], -v[226:227]
	v_mul_f64 v[214:215], v[152:153], s[46:47]
	v_add_f64 v[6:7], v[76:77], v[6:7]
	v_fma_f64 v[76:77], s[42:43], v[140:141], v[214:215]
	v_mul_f64 v[230:231], v[148:149], s[46:47]
	v_add_f64 v[4:5], v[76:77], v[4:5]
	v_fma_f64 v[76:77], v[158:159], s[42:43], -v[230:231]
	v_mul_f64 v[216:217], v[164:165], s[26:27]
	v_add_f64 v[6:7], v[76:77], v[6:7]
	v_fma_f64 v[76:77], s[22:23], v[154:155], v[216:217]
	;; [unrolled: 6-line block ×6, first 2 shown]
	v_mul_f64 v[240:241], v[190:191], s[50:51]
	v_add_f64 v[4:5], v[76:77], v[4:5]
	v_fma_f64 v[76:77], v[196:197], s[38:39], -v[240:241]
	v_add_f64 v[6:7], v[76:77], v[6:7]
	s_barrier
	s_and_saveexec_b64 s[34:35], vcc
	s_cbranch_execz .LBB0_21
; %bb.20:
	v_mul_f64 v[248:249], v[150:151], s[12:13]
	s_mov_b32 s57, 0x3fc7851a
	s_mov_b32 s56, s16
	v_mul_f64 v[244:245], v[156:157], s[20:21]
	v_fma_f64 v[250:251], s[56:57], v[138:139], v[248:249]
	v_mul_f64 v[96:97], v[158:159], s[28:29]
	v_fma_f64 v[246:247], s[48:49], v[142:143], v[244:245]
	v_add_f64 v[250:251], v[18:19], v[250:251]
	v_accvgpr_write_b32 a18, v88
	v_mul_f64 v[92:93], v[168:169], s[42:43]
	s_mov_b32 s55, 0xbfe58eea
	s_mov_b32 s54, s46
	v_fma_f64 v[98:99], s[40:41], v[148:149], v[96:97]
	v_add_f64 v[246:247], v[246:247], v[250:251]
	v_accvgpr_write_b32 a14, v84
	v_accvgpr_write_b32 a19, v89
	v_mul_f64 v[88:89], v[176:177], s[38:39]
	v_fma_f64 v[94:95], s[54:55], v[160:161], v[92:93]
	v_add_f64 v[98:99], v[98:99], v[246:247]
	v_accvgpr_write_b32 a12, v82
	v_accvgpr_write_b32 a15, v85
	v_mul_f64 v[84:85], v[188:189], s[22:23]
	v_accvgpr_write_b32 a16, v86
	v_fma_f64 v[90:91], s[44:45], v[166:167], v[88:89]
	v_add_f64 v[94:95], v[94:95], v[98:99]
	v_accvgpr_write_b32 a8, v80
	v_accvgpr_write_b32 a13, v83
	v_mul_f64 v[82:83], v[194:195], s[14:15]
	v_accvgpr_write_b32 a10, v78
	v_accvgpr_write_b32 a17, v87
	v_fma_f64 v[86:87], s[26:27], v[178:179], v[84:85]
	v_add_f64 v[90:91], v[90:91], v[94:95]
	v_accvgpr_write_b32 a9, v81
	v_mul_f64 v[80:81], v[196:197], s[4:5]
	v_accvgpr_write_b32 a11, v79
	v_fma_f64 v[78:79], s[24:25], v[184:185], v[82:83]
	v_add_f64 v[86:87], v[86:87], v[90:91]
	v_fma_f64 v[76:77], s[10:11], v[190:191], v[80:81]
	v_add_f64 v[78:79], v[78:79], v[86:87]
	v_mul_f64 v[108:109], v[144:145], s[16:17]
	v_add_f64 v[112:113], v[76:77], v[78:79]
	v_mul_f64 v[104:105], v[146:147], s[30:31]
	v_fma_f64 v[78:79], s[12:13], v[134:135], v[108:109]
	v_mul_f64 v[254:255], v[152:153], s[36:37]
	v_fma_f64 v[106:107], s[20:21], v[136:137], v[104:105]
	v_add_f64 v[78:79], v[16:17], v[78:79]
	v_mul_f64 v[252:253], v[164:165], s[46:47]
	v_add_f64 v[78:79], v[106:107], v[78:79]
	v_fma_f64 v[106:107], s[28:29], v[140:141], v[254:255]
	s_mov_b32 s59, 0x3feca52d
	s_mov_b32 s58, s26
	v_mul_f64 v[250:251], v[170:171], s[50:51]
	v_add_f64 v[78:79], v[106:107], v[78:79]
	v_fma_f64 v[106:107], s[42:43], v[154:155], v[252:253]
	v_mul_f64 v[98:99], v[182:183], s[58:59]
	v_add_f64 v[78:79], v[106:107], v[78:79]
	v_fma_f64 v[106:107], s[38:39], v[162:163], v[250:251]
	v_mul_f64 v[90:91], v[186:187], s[18:19]
	v_fma_f64 v[246:247], s[22:23], v[172:173], v[98:99]
	v_add_f64 v[78:79], v[106:107], v[78:79]
	v_mul_f64 v[86:87], v[192:193], s[52:53]
	v_fma_f64 v[94:95], s[14:15], v[174:175], v[90:91]
	v_add_f64 v[78:79], v[246:247], v[78:79]
	v_fma_f64 v[76:77], s[4:5], v[180:181], v[86:87]
	v_add_f64 v[78:79], v[94:95], v[78:79]
	v_fmac_f64_e32 v[248:249], s[16:17], v[138:139]
	v_add_f64 v[110:111], v[76:77], v[78:79]
	v_fmac_f64_e32 v[244:245], s[30:31], v[142:143]
	;; [unrolled: 2-line block ×6, first 2 shown]
	v_add_f64 v[76:77], v[88:89], v[76:77]
	v_fma_f64 v[92:93], v[134:135], s[12:13], -v[108:109]
	v_fmac_f64_e32 v[82:83], s[18:19], v[184:185]
	v_add_f64 v[76:77], v[84:85], v[76:77]
	v_fma_f64 v[78:79], v[174:175], s[14:15], -v[90:91]
	v_fma_f64 v[90:91], v[136:137], s[20:21], -v[104:105]
	v_add_f64 v[92:93], v[16:17], v[92:93]
	v_mul_f64 v[246:247], v[150:151], s[28:29]
	v_fmac_f64_e32 v[80:81], s[52:53], v[190:191]
	v_add_f64 v[76:77], v[82:83], v[76:77]
	v_fma_f64 v[88:89], v[140:141], s[28:29], -v[254:255]
	v_add_f64 v[90:91], v[90:91], v[92:93]
	v_mul_f64 v[108:109], v[156:157], s[22:23]
	v_fma_f64 v[248:249], s[40:41], v[138:139], v[246:247]
	v_add_f64 v[82:83], v[80:81], v[76:77]
	v_fma_f64 v[76:77], v[180:181], s[4:5], -v[86:87]
	v_fma_f64 v[86:87], v[154:155], s[42:43], -v[252:253]
	v_add_f64 v[88:89], v[88:89], v[90:91]
	v_mul_f64 v[104:105], v[158:159], s[4:5]
	v_fma_f64 v[244:245], s[26:27], v[142:143], v[108:109]
	v_add_f64 v[248:249], v[18:19], v[248:249]
	v_fma_f64 v[84:85], v[162:163], s[38:39], -v[250:251]
	v_add_f64 v[86:87], v[86:87], v[88:89]
	v_mul_f64 v[96:97], v[168:169], s[38:39]
	v_fma_f64 v[106:107], s[52:53], v[148:149], v[104:105]
	v_add_f64 v[244:245], v[244:245], v[248:249]
	;; [unrolled: 5-line block ×3, first 2 shown]
	v_add_f64 v[80:81], v[80:81], v[84:85]
	v_mul_f64 v[90:91], v[188:189], s[12:13]
	v_fma_f64 v[94:95], s[30:31], v[166:167], v[92:93]
	v_add_f64 v[98:99], v[98:99], v[106:107]
	v_add_f64 v[78:79], v[78:79], v[80:81]
	v_mul_f64 v[88:89], v[194:195], s[42:43]
	v_fma_f64 v[86:87], s[56:57], v[178:179], v[90:91]
	v_add_f64 v[94:95], v[94:95], v[98:99]
	;; [unrolled: 4-line block ×3, first 2 shown]
	v_mul_f64 v[250:251], v[144:145], s[36:37]
	v_fma_f64 v[78:79], s[24:25], v[190:191], v[76:77]
	v_add_f64 v[84:85], v[84:85], v[86:87]
	v_mul_f64 v[248:249], v[146:147], s[58:59]
	v_fma_f64 v[252:253], s[28:29], v[134:135], v[250:251]
	v_fmac_f64_e32 v[246:247], s[36:37], v[138:139]
	v_add_f64 v[86:87], v[78:79], v[84:85]
	v_mul_f64 v[244:245], v[152:153], s[10:11]
	v_fma_f64 v[84:85], s[22:23], v[136:137], v[248:249]
	v_add_f64 v[252:253], v[16:17], v[252:253]
	v_fmac_f64_e32 v[108:109], s[58:59], v[142:143]
	v_add_f64 v[246:247], v[18:19], v[246:247]
	v_mul_f64 v[106:107], v[164:165], s[44:45]
	v_add_f64 v[84:85], v[84:85], v[252:253]
	v_fma_f64 v[252:253], s[4:5], v[140:141], v[244:245]
	v_fmac_f64_e32 v[104:105], s[10:11], v[148:149]
	v_add_f64 v[108:109], v[108:109], v[246:247]
	v_mul_f64 v[98:99], v[170:171], s[48:49]
	v_add_f64 v[84:85], v[252:253], v[84:85]
	v_fma_f64 v[252:253], s[38:39], v[154:155], v[106:107]
	v_fmac_f64_e32 v[96:97], s[44:45], v[160:161]
	v_add_f64 v[104:105], v[104:105], v[108:109]
	v_mul_f64 v[94:95], v[182:183], s[16:17]
	v_add_f64 v[84:85], v[252:253], v[84:85]
	v_fma_f64 v[252:253], s[20:21], v[162:163], v[98:99]
	v_fmac_f64_e32 v[92:93], s[48:49], v[166:167]
	v_add_f64 v[96:97], v[96:97], v[104:105]
	v_mul_f64 v[78:79], v[186:187], s[46:47]
	v_add_f64 v[84:85], v[252:253], v[84:85]
	v_fma_f64 v[252:253], s[12:13], v[172:173], v[94:95]
	v_fmac_f64_e32 v[90:91], s[16:17], v[178:179]
	v_add_f64 v[92:93], v[92:93], v[96:97]
	v_fma_f64 v[104:105], v[134:135], s[28:29], -v[250:251]
	v_add_f64 v[84:85], v[252:253], v[84:85]
	v_fma_f64 v[252:253], s[42:43], v[174:175], v[78:79]
	v_fmac_f64_e32 v[88:89], s[46:47], v[184:185]
	v_add_f64 v[90:91], v[90:91], v[92:93]
	v_fma_f64 v[92:93], v[162:163], s[20:21], -v[98:99]
	v_fma_f64 v[98:99], v[136:137], s[22:23], -v[248:249]
	v_add_f64 v[104:105], v[16:17], v[104:105]
	v_add_f64 v[84:85], v[252:253], v[84:85]
	v_mul_f64 v[252:253], v[192:193], s[18:19]
	v_fmac_f64_e32 v[76:77], s[18:19], v[190:191]
	v_add_f64 v[88:89], v[88:89], v[90:91]
	v_fma_f64 v[96:97], v[140:141], s[4:5], -v[244:245]
	v_add_f64 v[98:99], v[98:99], v[104:105]
	v_mul_f64 v[250:251], v[150:151], s[38:39]
	v_fma_f64 v[254:255], s[14:15], v[180:181], v[252:253]
	v_add_f64 v[90:91], v[76:77], v[88:89]
	v_fma_f64 v[76:77], v[180:181], s[14:15], -v[252:253]
	v_fma_f64 v[88:89], v[172:173], s[12:13], -v[94:95]
	;; [unrolled: 1-line block ×3, first 2 shown]
	v_add_f64 v[96:97], v[96:97], v[98:99]
	v_mul_f64 v[246:247], v[156:157], s[14:15]
	v_fma_f64 v[252:253], s[44:45], v[138:139], v[250:251]
	v_add_f64 v[94:95], v[94:95], v[96:97]
	v_mul_f64 v[108:109], v[158:159], s[20:21]
	v_fma_f64 v[248:249], s[18:19], v[142:143], v[246:247]
	v_add_f64 v[252:253], v[18:19], v[252:253]
	v_add_f64 v[92:93], v[92:93], v[94:95]
	v_mul_f64 v[104:105], v[168:169], s[28:29]
	v_fma_f64 v[244:245], s[30:31], v[148:149], v[108:109]
	v_add_f64 v[248:249], v[248:249], v[252:253]
	v_fma_f64 v[78:79], v[174:175], s[42:43], -v[78:79]
	v_add_f64 v[88:89], v[88:89], v[92:93]
	v_mul_f64 v[98:99], v[176:177], s[4:5]
	v_fma_f64 v[106:107], s[40:41], v[160:161], v[104:105]
	v_add_f64 v[244:245], v[244:245], v[248:249]
	v_add_f64 v[78:79], v[78:79], v[88:89]
	v_mul_f64 v[96:97], v[188:189], s[42:43]
	v_fma_f64 v[94:95], s[10:11], v[166:167], v[98:99]
	v_add_f64 v[106:107], v[106:107], v[244:245]
	v_add_f64 v[84:85], v[254:255], v[84:85]
	;; [unrolled: 1-line block ×3, first 2 shown]
	v_mul_f64 v[76:77], v[194:195], s[12:13]
	v_fma_f64 v[92:93], s[46:47], v[178:179], v[96:97]
	v_add_f64 v[94:95], v[94:95], v[106:107]
	v_mul_f64 v[254:255], v[144:145], s[50:51]
	v_fma_f64 v[78:79], s[56:57], v[184:185], v[76:77]
	v_add_f64 v[92:93], v[92:93], v[94:95]
	;; [unrolled: 3-line block ×4, first 2 shown]
	v_mul_f64 v[244:245], v[164:165], s[36:37]
	v_add_f64 v[92:93], v[92:93], v[94:95]
	v_fma_f64 v[94:95], s[20:21], v[140:141], v[248:249]
	v_accvgpr_write_b32 a0, v110
	v_mul_f64 v[106:107], v[170:171], s[52:53]
	v_add_f64 v[92:93], v[94:95], v[92:93]
	v_fma_f64 v[94:95], s[28:29], v[154:155], v[244:245]
	v_accvgpr_write_b32 a1, v111
	v_accvgpr_write_b32 a2, v112
	;; [unrolled: 1-line block ×3, first 2 shown]
	v_add_f64 v[92:93], v[94:95], v[92:93]
	v_fma_f64 v[94:95], s[4:5], v[162:163], v[106:107]
	v_mul_f64 v[110:111], v[182:183], s[54:55]
	v_add_f64 v[92:93], v[94:95], v[92:93]
	v_fma_f64 v[94:95], s[42:43], v[172:173], v[110:111]
	v_mul_f64 v[112:113], v[186:187], s[16:17]
	;; [unrolled: 3-line block ×3, first 2 shown]
	v_add_f64 v[92:93], v[94:95], v[92:93]
	v_fma_f64 v[94:95], s[26:27], v[190:191], v[114:115]
	v_accvgpr_write_b32 a4, v80
	v_add_f64 v[94:95], v[94:95], v[78:79]
	v_mul_f64 v[78:79], v[192:193], s[58:59]
	v_accvgpr_write_b32 a5, v81
	v_accvgpr_write_b32 a6, v82
	;; [unrolled: 1-line block ×3, first 2 shown]
	v_fma_f64 v[80:81], s[22:23], v[180:181], v[78:79]
	v_fmac_f64_e32 v[250:251], s[50:51], v[138:139]
	v_add_f64 v[92:93], v[80:81], v[92:93]
	v_fmac_f64_e32 v[246:247], s[24:25], v[142:143]
	v_add_f64 v[80:81], v[18:19], v[250:251]
	v_add_f64 v[80:81], v[246:247], v[80:81]
	v_fmac_f64_e32 v[108:109], s[48:49], v[148:149]
	v_add_f64 v[80:81], v[108:109], v[80:81]
	v_fmac_f64_e32 v[104:105], s[36:37], v[160:161]
	v_add_f64 v[80:81], v[104:105], v[80:81]
	v_fmac_f64_e32 v[98:99], s[52:53], v[166:167]
	v_add_f64 v[80:81], v[98:99], v[80:81]
	v_fmac_f64_e32 v[96:97], s[54:55], v[178:179]
	v_fma_f64 v[98:99], v[134:135], s[38:39], -v[254:255]
	v_add_f64 v[80:81], v[96:97], v[80:81]
	v_fma_f64 v[96:97], v[136:137], s[14:15], -v[252:253]
	v_add_f64 v[98:99], v[16:17], v[98:99]
	v_add_f64 v[96:97], v[96:97], v[98:99]
	v_fma_f64 v[98:99], v[140:141], s[20:21], -v[248:249]
	v_add_f64 v[96:97], v[98:99], v[96:97]
	v_fma_f64 v[98:99], v[154:155], s[28:29], -v[244:245]
	;; [unrolled: 2-line block ×3, first 2 shown]
	v_fmac_f64_e32 v[76:77], s[16:17], v[184:185]
	v_add_f64 v[96:97], v[98:99], v[96:97]
	v_fma_f64 v[98:99], v[172:173], s[42:43], -v[110:111]
	v_add_f64 v[76:77], v[76:77], v[80:81]
	v_add_f64 v[96:97], v[98:99], v[96:97]
	v_fma_f64 v[98:99], v[174:175], s[12:13], -v[112:113]
	v_fmac_f64_e32 v[114:115], s[58:59], v[190:191]
	v_add_f64 v[96:97], v[98:99], v[96:97]
	v_add_f64 v[98:99], v[114:115], v[76:77]
	v_mul_f64 v[114:115], v[194:195], s[20:21]
	v_add_f64 v[114:115], v[238:239], v[114:115]
	v_mul_f64 v[238:239], v[188:189], s[4:5]
	v_mul_f64 v[108:109], v[150:151], s[14:15]
	v_add_f64 v[236:237], v[236:237], v[238:239]
	v_mul_f64 v[238:239], v[176:177], s[12:13]
	;; [unrolled: 3-line block ×3, first 2 shown]
	v_add_f64 v[108:109], v[222:223], v[108:109]
	v_add_f64 v[232:233], v[232:233], v[238:239]
	v_mul_f64 v[238:239], v[158:159], s[42:43]
	v_add_f64 v[110:111], v[226:227], v[110:111]
	v_add_f64 v[108:109], v[18:19], v[108:109]
	;; [unrolled: 1-line block ×7, first 2 shown]
	v_fma_f64 v[76:77], v[180:181], s[22:23], -v[78:79]
	v_mul_f64 v[78:79], v[196:197], s[38:39]
	v_add_f64 v[108:109], v[236:237], v[108:109]
	v_mul_f64 v[80:81], v[134:135], s[14:15]
	v_mul_f64 v[106:107], v[136:137], s[28:29]
	v_add_f64 v[78:79], v[240:241], v[78:79]
	v_add_f64 v[108:109], v[114:115], v[108:109]
	v_add_f64 v[106:107], v[106:107], -v[102:103]
	v_add_f64 v[102:103], v[78:79], v[108:109]
	v_add_f64 v[78:79], v[80:81], -v[100:101]
	v_mul_f64 v[238:239], v[140:141], s[42:43]
	v_add_f64 v[78:79], v[16:17], v[78:79]
	v_mul_f64 v[110:111], v[154:155], s[22:23]
	v_mul_f64 v[114:115], v[180:181], s[38:39]
	v_add_f64 v[214:215], v[238:239], -v[214:215]
	v_add_f64 v[78:79], v[106:107], v[78:79]
	v_mul_f64 v[234:235], v[162:163], s[12:13]
	v_add_f64 v[114:115], v[114:115], -v[228:229]
	v_mul_f64 v[228:229], v[174:175], s[20:21]
	v_add_f64 v[110:111], v[110:111], -v[216:217]
	v_add_f64 v[78:79], v[214:215], v[78:79]
	v_add_f64 v[224:225], v[228:229], -v[224:225]
	v_mul_f64 v[228:229], v[172:173], s[4:5]
	v_add_f64 v[218:219], v[234:235], -v[218:219]
	v_add_f64 v[78:79], v[110:111], v[78:79]
	v_add_f64 v[220:221], v[228:229], -v[220:221]
	v_add_f64 v[78:79], v[218:219], v[78:79]
	v_add_f64 v[78:79], v[220:221], v[78:79]
	;; [unrolled: 1-line block ×3, first 2 shown]
	v_mul_f64 v[222:223], v[168:169], s[20:21]
	v_add_f64 v[100:101], v[114:115], v[78:79]
	v_accvgpr_read_b32 v115, a19
	v_add_f64 v[96:97], v[76:77], v[96:97]
	v_mul_f64 v[76:77], v[158:159], s[14:15]
	v_add_f64 v[110:111], v[118:119], v[222:223]
	v_accvgpr_read_b32 v114, a18
	v_accvgpr_read_b32 v119, a15
	v_mul_f64 v[104:105], v[150:151], s[4:5]
	v_add_f64 v[76:77], v[114:115], v[76:77]
	v_accvgpr_read_b32 v115, a17
	v_accvgpr_read_b32 v118, a14
	v_mul_f64 v[244:245], v[156:157], s[12:13]
	v_accvgpr_read_b32 v114, a16
	v_add_f64 v[104:105], v[118:119], v[104:105]
	v_add_f64 v[114:115], v[114:115], v[244:245]
	;; [unrolled: 1-line block ×4, first 2 shown]
	v_mul_f64 v[232:233], v[176:177], s[22:23]
	v_add_f64 v[76:77], v[76:77], v[104:105]
	v_add_f64 v[108:109], v[200:201], v[232:233]
	;; [unrolled: 1-line block ×4, first 2 shown]
	v_accvgpr_read_b32 v109, a13
	v_mul_f64 v[112:113], v[140:141], s[14:15]
	v_accvgpr_read_b32 v108, a12
	v_accvgpr_read_b32 v115, a11
	v_mul_f64 v[82:83], v[134:135], s[4:5]
	v_mul_f64 v[228:229], v[188:189], s[28:29]
	v_add_f64 v[108:109], v[112:113], -v[108:109]
	v_accvgpr_read_b32 v113, a9
	v_accvgpr_read_b32 v114, a10
	v_mul_f64 v[246:247], v[136:137], s[12:13]
	v_mul_f64 v[216:217], v[194:195], s[38:39]
	v_add_f64 v[106:107], v[206:207], v[228:229]
	v_accvgpr_read_b32 v112, a8
	v_add_f64 v[82:83], v[82:83], -v[114:115]
	v_mul_f64 v[236:237], v[172:173], s[28:29]
	v_mul_f64 v[240:241], v[196:197], s[42:43]
	v_add_f64 v[80:81], v[208:209], v[216:217]
	v_add_f64 v[76:77], v[106:107], v[76:77]
	v_add_f64 v[112:113], v[246:247], -v[112:113]
	v_add_f64 v[82:83], v[16:17], v[82:83]
	v_mul_f64 v[206:207], v[150:151], s[22:23]
	v_mul_f64 v[226:227], v[154:155], s[20:21]
	;; [unrolled: 1-line block ×4, first 2 shown]
	v_add_f64 v[78:79], v[212:213], v[240:241]
	v_add_f64 v[76:77], v[80:81], v[76:77]
	v_add_f64 v[80:81], v[236:237], -v[202:203]
	v_add_f64 v[82:83], v[112:113], v[82:83]
	v_mul_f64 v[202:203], v[156:157], s[38:39]
	v_fma_f64 v[208:209], s[58:59], v[138:139], v[206:207]
	v_add_f64 v[110:111], v[78:79], v[76:77]
	v_add_f64 v[78:79], v[234:235], -v[204:205]
	v_add_f64 v[104:105], v[230:231], -v[198:199]
	;; [unrolled: 1-line block ×3, first 2 shown]
	v_add_f64 v[82:83], v[108:109], v[82:83]
	v_mul_f64 v[198:199], v[158:159], s[12:13]
	v_fma_f64 v[204:205], s[44:45], v[142:143], v[202:203]
	v_add_f64 v[208:209], v[18:19], v[208:209]
	v_mul_f64 v[224:225], v[144:145], s[26:27]
	v_add_f64 v[82:83], v[106:107], v[82:83]
	v_mul_f64 v[116:117], v[168:169], s[14:15]
	v_fma_f64 v[200:201], s[16:17], v[148:149], v[198:199]
	v_add_f64 v[204:205], v[204:205], v[208:209]
	v_mul_f64 v[220:221], v[146:147], s[50:51]
	v_fma_f64 v[226:227], s[22:23], v[134:135], v[224:225]
	;; [unrolled: 3-line block ×4, first 2 shown]
	v_add_f64 v[226:227], v[16:17], v[226:227]
	v_mul_f64 v[238:239], v[180:181], s[42:43]
	v_add_f64 v[80:81], v[80:81], v[82:83]
	v_mul_f64 v[112:113], v[188:189], s[20:21]
	v_fma_f64 v[106:107], s[54:55], v[166:167], v[114:115]
	v_add_f64 v[118:119], v[118:119], v[200:201]
	v_mul_f64 v[212:213], v[164:165], s[24:25]
	v_fma_f64 v[218:219], s[12:13], v[140:141], v[216:217]
	v_add_f64 v[222:223], v[222:223], v[226:227]
	v_add_f64 v[76:77], v[238:239], -v[210:211]
	v_add_f64 v[78:79], v[78:79], v[80:81]
	v_mul_f64 v[80:81], v[194:195], s[4:5]
	v_fma_f64 v[104:105], s[30:31], v[178:179], v[112:113]
	v_add_f64 v[106:107], v[106:107], v[118:119]
	v_mul_f64 v[208:209], v[170:171], s[46:47]
	v_fma_f64 v[214:215], s[14:15], v[154:155], v[212:213]
	v_add_f64 v[218:219], v[218:219], v[222:223]
	v_add_f64 v[108:109], v[76:77], v[78:79]
	v_mul_f64 v[76:77], v[196:197], s[28:29]
	v_fma_f64 v[82:83], s[52:53], v[184:185], v[80:81]
	v_add_f64 v[104:105], v[104:105], v[106:107]
	v_mul_f64 v[204:205], v[182:183], s[48:49]
	v_fma_f64 v[210:211], s[42:43], v[162:163], v[208:209]
	v_add_f64 v[214:215], v[214:215], v[218:219]
	v_fma_f64 v[78:79], s[40:41], v[190:191], v[76:77]
	v_add_f64 v[82:83], v[82:83], v[104:105]
	v_mul_f64 v[200:201], v[186:187], s[10:11]
	v_fma_f64 v[118:119], s[20:21], v[172:173], v[204:205]
	v_add_f64 v[210:211], v[210:211], v[214:215]
	v_add_f64 v[106:107], v[78:79], v[82:83]
	v_mul_f64 v[78:79], v[192:193], s[36:37]
	v_fma_f64 v[104:105], s[4:5], v[174:175], v[200:201]
	v_add_f64 v[118:119], v[118:119], v[210:211]
	v_fma_f64 v[82:83], s[28:29], v[180:181], v[78:79]
	v_add_f64 v[104:105], v[104:105], v[118:119]
	v_fmac_f64_e32 v[206:207], s[26:27], v[138:139]
	v_add_f64 v[104:105], v[82:83], v[104:105]
	v_fmac_f64_e32 v[202:203], s[50:51], v[142:143]
	;; [unrolled: 2-line block ×4, first 2 shown]
	v_add_f64 v[82:83], v[198:199], v[82:83]
	v_fma_f64 v[198:199], v[134:135], s[22:23], -v[224:225]
	v_fmac_f64_e32 v[114:115], s[46:47], v[166:167]
	v_add_f64 v[82:83], v[116:117], v[82:83]
	v_fma_f64 v[116:117], v[136:137], s[38:39], -v[220:221]
	v_add_f64 v[198:199], v[16:17], v[198:199]
	v_mul_f64 v[214:215], v[150:151], s[42:43]
	v_fmac_f64_e32 v[112:113], s[48:49], v[178:179]
	v_add_f64 v[82:83], v[114:115], v[82:83]
	v_fma_f64 v[114:115], v[140:141], s[12:13], -v[216:217]
	v_add_f64 v[116:117], v[116:117], v[198:199]
	v_mul_f64 v[210:211], v[156:157], s[4:5]
	v_fma_f64 v[216:217], s[46:47], v[138:139], v[214:215]
	v_fmac_f64_e32 v[80:81], s[10:11], v[184:185]
	v_add_f64 v[82:83], v[112:113], v[82:83]
	v_fma_f64 v[112:113], v[154:155], s[14:15], -v[212:213]
	v_add_f64 v[114:115], v[114:115], v[116:117]
	v_mul_f64 v[206:207], v[158:159], s[38:39]
	v_fma_f64 v[212:213], s[52:53], v[142:143], v[210:211]
	v_add_f64 v[216:217], v[18:19], v[216:217]
	v_mul_f64 v[232:233], v[144:145], s[54:55]
	v_fmac_f64_e32 v[76:77], s[36:37], v[190:191]
	v_add_f64 v[80:81], v[80:81], v[82:83]
	v_fma_f64 v[82:83], v[162:163], s[42:43], -v[208:209]
	v_add_f64 v[112:113], v[112:113], v[114:115]
	v_mul_f64 v[202:203], v[168:169], s[12:13]
	v_fma_f64 v[208:209], s[44:45], v[148:149], v[206:207]
	v_add_f64 v[212:213], v[212:213], v[216:217]
	v_mul_f64 v[228:229], v[146:147], s[10:11]
	v_fma_f64 v[234:235], s[42:43], v[134:135], v[232:233]
	v_add_f64 v[118:119], v[76:77], v[80:81]
	v_fma_f64 v[76:77], v[180:181], s[28:29], -v[78:79]
	v_fma_f64 v[78:79], v[174:175], s[4:5], -v[200:201]
	;; [unrolled: 1-line block ×3, first 2 shown]
	v_add_f64 v[82:83], v[82:83], v[112:113]
	v_mul_f64 v[200:201], v[176:177], s[28:29]
	v_fma_f64 v[204:205], s[56:57], v[160:161], v[202:203]
	v_add_f64 v[208:209], v[208:209], v[212:213]
	v_mul_f64 v[224:225], v[152:153], s[50:51]
	v_fma_f64 v[230:231], s[4:5], v[136:137], v[228:229]
	v_add_f64 v[234:235], v[16:17], v[234:235]
	v_add_f64 v[80:81], v[80:81], v[82:83]
	v_mul_f64 v[198:199], v[188:189], s[14:15]
	v_fma_f64 v[114:115], s[36:37], v[166:167], v[200:201]
	v_add_f64 v[204:205], v[204:205], v[208:209]
	v_mul_f64 v[220:221], v[164:165], s[16:17]
	v_fma_f64 v[226:227], s[38:39], v[140:141], v[224:225]
	v_add_f64 v[230:231], v[230:231], v[234:235]
	;; [unrolled: 7-line block ×4, first 2 shown]
	v_fma_f64 v[78:79], s[48:49], v[190:191], v[76:77]
	v_add_f64 v[82:83], v[82:83], v[112:113]
	v_mul_f64 v[204:205], v[186:187], s[58:59]
	v_fma_f64 v[212:213], s[14:15], v[172:173], v[208:209]
	v_add_f64 v[218:219], v[218:219], v[222:223]
	v_add_f64 v[114:115], v[78:79], v[82:83]
	v_mul_f64 v[78:79], v[192:193], s[30:31]
	v_fma_f64 v[112:113], s[22:23], v[174:175], v[204:205]
	v_add_f64 v[212:213], v[212:213], v[218:219]
	v_fma_f64 v[82:83], s[20:21], v[180:181], v[78:79]
	v_add_f64 v[112:113], v[112:113], v[212:213]
	v_fmac_f64_e32 v[214:215], s[54:55], v[138:139]
	v_add_f64 v[112:113], v[82:83], v[112:113]
	v_fmac_f64_e32 v[210:211], s[10:11], v[142:143]
	v_add_f64 v[82:83], v[18:19], v[214:215]
	v_fmac_f64_e32 v[206:207], s[50:51], v[148:149]
	v_add_f64 v[82:83], v[210:211], v[82:83]
	v_fmac_f64_e32 v[202:203], s[16:17], v[160:161]
	v_add_f64 v[82:83], v[206:207], v[82:83]
	v_fmac_f64_e32 v[200:201], s[40:41], v[166:167]
	v_add_f64 v[82:83], v[202:203], v[82:83]
	v_fmac_f64_e32 v[198:199], s[24:25], v[178:179]
	v_add_f64 v[82:83], v[200:201], v[82:83]
	v_fmac_f64_e32 v[80:81], s[58:59], v[184:185]
	v_add_f64 v[82:83], v[198:199], v[82:83]
	v_fmac_f64_e32 v[76:77], s[30:31], v[190:191]
	v_add_f64 v[80:81], v[80:81], v[82:83]
	v_fma_f64 v[206:207], v[134:135], s[42:43], -v[232:233]
	v_add_f64 v[200:201], v[76:77], v[80:81]
	v_fma_f64 v[76:77], v[180:181], s[20:21], -v[78:79]
	v_fma_f64 v[78:79], v[174:175], s[22:23], -v[204:205]
	;; [unrolled: 1-line block ×3, first 2 shown]
	v_add_f64 v[206:207], v[16:17], v[206:207]
	v_fma_f64 v[202:203], v[140:141], s[38:39], -v[224:225]
	v_add_f64 v[204:205], v[204:205], v[206:207]
	v_fma_f64 v[198:199], v[154:155], s[12:13], -v[220:221]
	v_add_f64 v[202:203], v[202:203], v[204:205]
	v_mul_f64 v[150:151], v[150:151], s[20:21]
	v_fma_f64 v[80:81], v[172:173], s[14:15], -v[208:209]
	v_fma_f64 v[82:83], v[162:163], s[28:29], -v[216:217]
	v_add_f64 v[198:199], v[198:199], v[202:203]
	v_mul_f64 v[206:207], v[156:157], s[42:43]
	v_fma_f64 v[208:209], s[30:31], v[138:139], v[150:151]
	v_add_f64 v[82:83], v[82:83], v[198:199]
	v_mul_f64 v[204:205], v[158:159], s[22:23]
	v_fma_f64 v[156:157], s[46:47], v[142:143], v[206:207]
	v_add_f64 v[208:209], v[18:19], v[208:209]
	v_add_f64 v[80:81], v[80:81], v[82:83]
	v_mul_f64 v[168:169], v[168:169], s[4:5]
	v_fma_f64 v[158:159], s[58:59], v[148:149], v[204:205]
	v_add_f64 v[156:157], v[156:157], v[208:209]
	v_mul_f64 v[144:145], v[144:145], s[48:49]
	v_add_f64 v[78:79], v[78:79], v[80:81]
	v_mul_f64 v[176:177], v[176:177], s[14:15]
	v_fma_f64 v[202:203], s[52:53], v[160:161], v[168:169]
	v_add_f64 v[156:157], v[158:159], v[156:157]
	v_mul_f64 v[146:147], v[146:147], s[54:55]
	v_fma_f64 v[210:211], s[20:21], v[134:135], v[144:145]
	v_add_f64 v[198:199], v[76:77], v[78:79]
	v_mul_f64 v[76:77], v[196:197], s[12:13]
	v_mul_f64 v[188:189], v[188:189], s[38:39]
	v_fma_f64 v[196:197], s[24:25], v[166:167], v[176:177]
	v_add_f64 v[156:157], v[202:203], v[156:157]
	v_mul_f64 v[152:153], v[152:153], s[26:27]
	v_fma_f64 v[208:209], s[42:43], v[136:137], v[146:147]
	v_add_f64 v[210:211], v[16:17], v[210:211]
	;; [unrolled: 3-line block ×4, first 2 shown]
	v_fma_f64 v[82:83], s[40:41], v[184:185], v[80:81]
	v_add_f64 v[156:157], v[194:195], v[156:157]
	v_mul_f64 v[170:171], v[170:171], s[18:19]
	v_fma_f64 v[196:197], s[4:5], v[154:155], v[164:165]
	v_add_f64 v[202:203], v[202:203], v[208:209]
	v_fma_f64 v[78:79], s[56:57], v[190:191], v[76:77]
	v_add_f64 v[82:83], v[82:83], v[156:157]
	v_mul_f64 v[182:183], v[182:183], s[50:51]
	v_fma_f64 v[194:195], s[14:15], v[162:163], v[170:171]
	v_add_f64 v[196:197], v[196:197], v[202:203]
	v_add_f64 v[158:159], v[78:79], v[82:83]
	v_mul_f64 v[78:79], v[192:193], s[16:17]
	v_mul_f64 v[186:187], v[186:187], s[36:37]
	v_fma_f64 v[192:193], s[38:39], v[172:173], v[182:183]
	v_add_f64 v[194:195], v[194:195], v[196:197]
	v_fma_f64 v[156:157], s[28:29], v[174:175], v[186:187]
	v_add_f64 v[192:193], v[192:193], v[194:195]
	v_fma_f64 v[82:83], s[12:13], v[180:181], v[78:79]
	v_add_f64 v[156:157], v[156:157], v[192:193]
	v_fmac_f64_e32 v[150:151], s[48:49], v[138:139]
	v_add_f64 v[156:157], v[82:83], v[156:157]
	v_add_f64 v[82:83], v[18:19], v[150:151]
	v_add_f64 v[18:19], v[18:19], v[22:23]
	v_add_f64 v[18:19], v[18:19], v[26:27]
	v_add_f64 v[18:19], v[18:19], v[30:31]
	v_add_f64 v[18:19], v[18:19], v[42:43]
	v_add_f64 v[18:19], v[18:19], v[46:47]
	v_add_f64 v[18:19], v[18:19], v[58:59]
	v_add_f64 v[18:19], v[18:19], v[62:63]
	v_add_f64 v[18:19], v[18:19], v[70:71]
	v_add_f64 v[18:19], v[18:19], v[74:75]
	v_add_f64 v[18:19], v[18:19], v[66:67]
	v_add_f64 v[18:19], v[18:19], v[54:55]
	v_add_f64 v[18:19], v[18:19], v[50:51]
	v_add_f64 v[18:19], v[18:19], v[38:39]
	v_add_f64 v[18:19], v[18:19], v[34:35]
	v_add_f64 v[14:15], v[18:19], v[14:15]
	v_add_f64 v[10:11], v[14:15], v[10:11]
	v_add_f64 v[14:15], v[16:17], v[20:21]
	v_add_f64 v[14:15], v[14:15], v[24:25]
	v_add_f64 v[14:15], v[14:15], v[28:29]
	v_add_f64 v[14:15], v[14:15], v[40:41]
	v_add_f64 v[14:15], v[14:15], v[44:45]
	v_add_f64 v[14:15], v[14:15], v[56:57]
	v_fmac_f64_e32 v[206:207], s[54:55], v[142:143]
	v_add_f64 v[14:15], v[14:15], v[60:61]
	v_fmac_f64_e32 v[204:205], s[26:27], v[148:149]
	v_add_f64 v[82:83], v[206:207], v[82:83]
	v_add_f64 v[14:15], v[14:15], v[68:69]
	v_fmac_f64_e32 v[168:169], s[10:11], v[160:161]
	v_add_f64 v[82:83], v[204:205], v[82:83]
	v_fma_f64 v[134:135], v[134:135], s[20:21], -v[144:145]
	v_add_f64 v[14:15], v[14:15], v[72:73]
	v_fmac_f64_e32 v[176:177], s[18:19], v[166:167]
	v_add_f64 v[82:83], v[168:169], v[82:83]
	v_fma_f64 v[136:137], v[136:137], s[42:43], -v[146:147]
	v_add_f64 v[134:135], v[16:17], v[134:135]
	v_add_f64 v[14:15], v[14:15], v[64:65]
	v_fmac_f64_e32 v[188:189], s[50:51], v[178:179]
	v_add_f64 v[82:83], v[176:177], v[82:83]
	v_fma_f64 v[140:141], v[140:141], s[22:23], -v[152:153]
	v_add_f64 v[134:135], v[136:137], v[134:135]
	;; [unrolled: 5-line block ×4, first 2 shown]
	v_add_f64 v[14:15], v[14:15], v[36:37]
	v_add_f64 v[138:139], v[76:77], v[80:81]
	v_fma_f64 v[80:81], v[172:173], s[38:39], -v[182:183]
	v_add_f64 v[82:83], v[82:83], v[134:135]
	v_add_f64 v[14:15], v[14:15], v[32:33]
	v_fma_f64 v[76:77], v[180:181], s[12:13], -v[78:79]
	v_fma_f64 v[78:79], v[174:175], s[28:29], -v[186:187]
	v_add_f64 v[80:81], v[80:81], v[82:83]
	v_add_f64 v[12:13], v[14:15], v[12:13]
	s_movk_i32 s4, 0x110
	v_add_f64 v[78:79], v[78:79], v[80:81]
	v_add_f64 v[8:9], v[12:13], v[8:9]
	v_mad_u32_u24 v12, v124, s4, 0
	v_add_f64 v[136:137], v[76:77], v[78:79]
	ds_write_b128 v12, v[8:11]
	ds_write_b128 v12, v[136:139] offset:16
	ds_write_b128 v12, v[198:201] offset:32
	;; [unrolled: 1-line block ×16, first 2 shown]
.LBB0_21:
	s_or_b64 exec, exec, s[34:35]
	s_movk_i32 s4, 0xf1
	v_add_u16_e32 v56, 0x77, v124
	v_mul_lo_u16_sdwa v59, v124, s4 dst_sel:DWORD dst_unused:UNUSED_PAD src0_sel:BYTE_0 src1_sel:DWORD
	v_mul_lo_u16_sdwa v57, v56, s4 dst_sel:DWORD dst_unused:UNUSED_PAD src0_sel:BYTE_0 src1_sel:DWORD
	s_mov_b32 s4, 0xf0f1
	v_mul_u32_u24_sdwa v24, v130, s4 dst_sel:DWORD dst_unused:UNUSED_PAD src0_sel:WORD_0 src1_sel:DWORD
	v_mul_u32_u24_sdwa v16, v126, s4 dst_sel:DWORD dst_unused:UNUSED_PAD src0_sel:WORD_0 src1_sel:DWORD
	v_lshrrev_b32_e32 v106, 20, v24
	v_lshrrev_b32_e32 v102, 20, v16
	v_mul_lo_u16_e32 v24, 17, v106
	v_mul_lo_u16_e32 v16, 17, v102
	v_sub_u16_e32 v24, v130, v24
	v_lshrrev_b16_e32 v98, 12, v59
	v_sub_u16_e32 v16, v126, v16
	v_lshlrev_b32_e32 v107, 4, v24
	v_mul_u32_u24_sdwa v24, v132, s4 dst_sel:DWORD dst_unused:UNUSED_PAD src0_sel:WORD_0 src1_sel:DWORD
	v_mul_lo_u16_e32 v8, 17, v98
	v_lshlrev_b32_e32 v103, 4, v16
	v_mul_u32_u24_sdwa v16, v128, s4 dst_sel:DWORD dst_unused:UNUSED_PAD src0_sel:WORD_0 src1_sel:DWORD
	v_lshrrev_b32_e32 v108, 20, v24
	v_sub_u16_e32 v8, v124, v8
	v_mov_b32_e32 v58, 4
	v_lshrrev_b16_e32 v100, 12, v57
	v_lshrrev_b32_e32 v104, 20, v16
	v_mul_lo_u16_e32 v24, 17, v108
	v_lshlrev_b32_sdwa v99, v58, v8 dst_sel:DWORD dst_unused:UNUSED_PAD src0_sel:DWORD src1_sel:BYTE_0
	v_mul_lo_u16_e32 v8, 17, v100
	v_mul_lo_u16_e32 v16, 17, v104
	v_sub_u16_e32 v28, v132, v24
	v_sub_u16_e32 v8, v56, v8
	;; [unrolled: 1-line block ×3, first 2 shown]
	v_lshlrev_b32_e32 v109, 4, v28
	s_waitcnt lgkmcnt(0)
	s_barrier
	v_lshlrev_b32_sdwa v101, v58, v8 dst_sel:DWORD dst_unused:UNUSED_PAD src0_sel:DWORD src1_sel:BYTE_0
	global_load_dwordx4 v[8:11], v99, s[8:9]
	global_load_dwordx4 v[12:15], v101, s[8:9]
	v_lshlrev_b32_e32 v105, 4, v16
	global_load_dwordx4 v[16:19], v103, s[8:9]
	global_load_dwordx4 v[20:23], v105, s[8:9]
	;; [unrolled: 1-line block ×4, first 2 shown]
	ds_read_b128 v[32:35], v242
	ds_read_b128 v[36:39], v242 offset:1904
	ds_read_b128 v[40:43], v242 offset:11424
	;; [unrolled: 1-line block ×3, first 2 shown]
	ds_read_b128 v[48:51], v125
	ds_read_b128 v[52:55], v129
	ds_read_b128 v[60:63], v242 offset:15232
	ds_read_b128 v[64:67], v242 offset:17136
	ds_read_b128 v[68:71], v127
	ds_read_b128 v[72:75], v131
	ds_read_b128 v[76:79], v242 offset:19040
	ds_read_b128 v[80:83], v242 offset:20944
	s_waitcnt lgkmcnt(0)
	s_barrier
	s_mov_b32 s5, 0x5040100
	s_movk_i32 s4, 0x220
	s_waitcnt vmcnt(5)
	v_mul_f64 v[84:85], v[42:43], v[10:11]
	v_mul_f64 v[10:11], v[40:41], v[10:11]
	s_waitcnt vmcnt(4)
	v_mul_f64 v[86:87], v[46:47], v[14:15]
	v_mul_f64 v[14:15], v[44:45], v[14:15]
	;; [unrolled: 3-line block ×6, first 2 shown]
	v_fma_f64 v[30:31], v[40:41], v[8:9], -v[84:85]
	v_fmac_f64_e32 v[10:11], v[42:43], v[8:9]
	v_fma_f64 v[8:9], v[44:45], v[12:13], -v[86:87]
	v_fmac_f64_e32 v[14:15], v[46:47], v[12:13]
	;; [unrolled: 2-line block ×6, first 2 shown]
	v_add_f64 v[28:29], v[32:33], -v[30:31]
	v_add_f64 v[30:31], v[34:35], -v[10:11]
	v_mul_u32_u24_e32 v60, 0x220, v98
	v_fma_f64 v[32:33], v[32:33], 2.0, -v[28:29]
	v_fma_f64 v[34:35], v[34:35], 2.0, -v[30:31]
	v_add3_u32 v60, 0, v60, v99
	v_add_f64 v[40:41], v[36:37], -v[8:9]
	v_add_f64 v[42:43], v[38:39], -v[14:15]
	ds_write_b128 v60, v[32:35]
	ds_write_b128 v60, v[28:31] offset:272
	v_mul_u32_u24_e32 v28, 0x220, v100
	v_fma_f64 v[36:37], v[36:37], 2.0, -v[40:41]
	v_fma_f64 v[38:39], v[38:39], 2.0, -v[42:43]
	v_add3_u32 v28, 0, v28, v101
	ds_write_b128 v28, v[36:39]
	ds_write_b128 v28, v[40:43] offset:272
	v_perm_b32 v28, v104, v102, s5
	v_pk_mul_lo_u16 v28, v28, s4 op_sel_hi:[1,0]
	v_add_f64 v[44:45], v[48:49], -v[12:13]
	v_add_f64 v[46:47], v[50:51], -v[18:19]
	;; [unrolled: 1-line block ×4, first 2 shown]
	v_and_b32_e32 v29, 0xffe0, v28
	v_lshrrev_b32_e32 v28, 16, v28
	v_fma_f64 v[48:49], v[48:49], 2.0, -v[44:45]
	v_fma_f64 v[50:51], v[50:51], 2.0, -v[46:47]
	;; [unrolled: 1-line block ×4, first 2 shown]
	v_add3_u32 v29, 0, v29, v103
	v_add3_u32 v28, 0, v28, v105
	ds_write_b128 v29, v[48:51]
	ds_write_b128 v29, v[44:47] offset:272
	ds_write_b128 v28, v[52:55]
	ds_write_b128 v28, v[8:11] offset:272
	v_perm_b32 v28, v108, v106, s5
	v_pk_mul_lo_u16 v28, v28, s4 op_sel_hi:[1,0]
	v_add_f64 v[16:17], v[68:69], -v[20:21]
	v_add_f64 v[18:19], v[70:71], -v[26:27]
	;; [unrolled: 1-line block ×4, first 2 shown]
	v_and_b32_e32 v29, 0xffe0, v28
	v_lshrrev_b32_e32 v28, 16, v28
	v_fma_f64 v[12:13], v[68:69], 2.0, -v[16:17]
	v_fma_f64 v[14:15], v[70:71], 2.0, -v[18:19]
	;; [unrolled: 1-line block ×4, first 2 shown]
	v_add3_u32 v29, 0, v29, v107
	v_add3_u32 v28, 0, v28, v109
	ds_write_b128 v29, v[12:15]
	ds_write_b128 v29, v[16:19] offset:272
	ds_write_b128 v28, v[20:23]
	ds_write_b128 v28, v[24:27] offset:272
	s_waitcnt lgkmcnt(0)
	s_barrier
	ds_read_b128 v[28:31], v242
	ds_read_b128 v[52:55], v242 offset:3264
	ds_read_b128 v[48:51], v242 offset:6528
	;; [unrolled: 1-line block ×6, first 2 shown]
	s_movk_i32 s4, 0x55
	v_cmp_gt_u32_e32 vcc, s4, v124
	s_and_saveexec_b64 s[4:5], vcc
	s_cbranch_execz .LBB0_23
; %bb.22:
	ds_read_b128 v[8:11], v242 offset:1904
	ds_read_b128 v[12:15], v242 offset:5168
	ds_read_b128 v[16:19], v242 offset:8432
	ds_read_b128 v[20:23], v242 offset:11696
	ds_read_b128 v[24:27], v242 offset:14960
	ds_read_b128 v[4:7], v242 offset:18224
	ds_read_b128 v[0:3], v242 offset:21488
.LBB0_23:
	s_or_b64 exec, exec, s[4:5]
	v_lshrrev_b16_e32 v96, 13, v59
	v_mul_lo_u16_e32 v59, 34, v96
	v_sub_u16_e32 v97, v124, v59
	v_mov_b32_e32 v59, 6
	v_mul_u32_u24_sdwa v60, v97, v59 dst_sel:DWORD dst_unused:UNUSED_PAD src0_sel:BYTE_0 src1_sel:DWORD
	v_lshlrev_b32_e32 v84, 4, v60
	global_load_dwordx4 v[60:63], v84, s[8:9] offset:272
	global_load_dwordx4 v[64:67], v84, s[8:9] offset:288
	;; [unrolled: 1-line block ×6, first 2 shown]
	s_mov_b32 s10, 0x37e14327
	s_mov_b32 s12, 0x36b3c0b5
	;; [unrolled: 1-line block ×20, first 2 shown]
	v_lshlrev_b32_sdwa v58, v58, v97 dst_sel:DWORD dst_unused:UNUSED_PAD src0_sel:DWORD src1_sel:BYTE_0
	s_waitcnt lgkmcnt(0)
	s_barrier
	s_waitcnt vmcnt(5)
	v_mul_f64 v[84:85], v[54:55], v[62:63]
	v_mul_f64 v[62:63], v[52:53], v[62:63]
	s_waitcnt vmcnt(4)
	v_mul_f64 v[86:87], v[50:51], v[66:67]
	v_mul_f64 v[66:67], v[48:49], v[66:67]
	s_waitcnt vmcnt(1)
	v_mul_f64 v[92:93], v[38:39], v[78:79]
	v_mul_f64 v[78:79], v[36:37], v[78:79]
	s_waitcnt vmcnt(0)
	v_mul_f64 v[94:95], v[34:35], v[82:83]
	v_mul_f64 v[82:83], v[32:33], v[82:83]
	v_mul_f64 v[88:89], v[46:47], v[70:71]
	v_mul_f64 v[70:71], v[44:45], v[70:71]
	;; [unrolled: 1-line block ×4, first 2 shown]
	v_fma_f64 v[52:53], v[52:53], v[60:61], -v[84:85]
	v_fmac_f64_e32 v[62:63], v[54:55], v[60:61]
	v_fma_f64 v[48:49], v[48:49], v[64:65], -v[86:87]
	v_fmac_f64_e32 v[66:67], v[50:51], v[64:65]
	;; [unrolled: 2-line block ×6, first 2 shown]
	v_add_f64 v[34:35], v[52:53], v[32:33]
	v_add_f64 v[38:39], v[62:63], v[82:83]
	;; [unrolled: 1-line block ×4, first 2 shown]
	v_add_f64 v[32:33], v[52:53], -v[32:33]
	v_add_f64 v[42:43], v[62:63], -v[82:83]
	v_add_f64 v[52:53], v[44:45], v[40:41]
	v_add_f64 v[54:55], v[70:71], v[74:75]
	;; [unrolled: 1-line block ×4, first 2 shown]
	v_add_f64 v[36:37], v[48:49], -v[36:37]
	v_add_f64 v[48:49], v[66:67], -v[78:79]
	;; [unrolled: 1-line block ×9, first 2 shown]
	v_add_f64 v[52:53], v[52:53], v[60:61]
	v_add_f64 v[54:55], v[54:55], v[62:63]
	v_add_f64 v[44:45], v[74:75], -v[70:71]
	v_add_f64 v[68:69], v[40:41], v[36:37]
	v_add_f64 v[72:73], v[40:41], -v[36:37]
	v_add_f64 v[36:37], v[36:37], -v[32:33]
	v_add_f64 v[28:29], v[28:29], v[52:53]
	v_add_f64 v[30:31], v[30:31], v[54:55]
	;; [unrolled: 1-line block ×3, first 2 shown]
	v_add_f64 v[74:75], v[44:45], -v[48:49]
	v_add_f64 v[40:41], v[32:33], -v[40:41]
	;; [unrolled: 1-line block ×3, first 2 shown]
	v_add_f64 v[32:33], v[68:69], v[32:33]
	v_mul_f64 v[34:35], v[34:35], s[10:11]
	v_mul_f64 v[38:39], v[38:39], s[10:11]
	;; [unrolled: 1-line block ×6, first 2 shown]
	v_mov_b64_e32 v[76:77], v[28:29]
	v_mov_b64_e32 v[78:79], v[30:31]
	v_add_f64 v[44:45], v[42:43], -v[44:45]
	v_add_f64 v[42:43], v[70:71], v[42:43]
	v_mul_f64 v[70:71], v[74:75], s[16:17]
	v_mul_f64 v[74:75], v[48:49], s[4:5]
	v_fmac_f64_e32 v[76:77], s[14:15], v[52:53]
	v_fmac_f64_e32 v[78:79], s[14:15], v[54:55]
	v_fma_f64 v[52:53], v[64:65], s[18:19], -v[60:61]
	v_fma_f64 v[54:55], v[66:67], s[18:19], -v[62:63]
	;; [unrolled: 1-line block ×3, first 2 shown]
	v_fmac_f64_e32 v[34:35], s[12:13], v[46:47]
	v_fma_f64 v[46:47], v[66:67], s[22:23], -v[38:39]
	v_fmac_f64_e32 v[38:39], s[12:13], v[50:51]
	v_fma_f64 v[50:51], v[36:37], s[4:5], -v[68:69]
	v_fma_f64 v[62:63], v[40:41], s[24:25], -v[72:73]
	;; [unrolled: 1-line block ×3, first 2 shown]
	v_fmac_f64_e32 v[70:71], s[26:27], v[44:45]
	v_fma_f64 v[64:65], v[44:45], s[24:25], -v[74:75]
	v_add_f64 v[44:45], v[52:53], v[76:77]
	v_add_f64 v[52:53], v[54:55], v[78:79]
	;; [unrolled: 1-line block ×4, first 2 shown]
	v_fmac_f64_e32 v[50:51], s[20:21], v[32:33]
	v_fmac_f64_e32 v[62:63], s[20:21], v[32:33]
	;; [unrolled: 1-line block ×3, first 2 shown]
	v_add_f64 v[72:73], v[38:39], v[78:79]
	v_fmac_f64_e32 v[70:71], s[20:21], v[42:43]
	v_fmac_f64_e32 v[48:49], s[20:21], v[42:43]
	;; [unrolled: 1-line block ×3, first 2 shown]
	v_add_f64 v[38:39], v[60:61], -v[62:63]
	v_add_f64 v[42:43], v[50:51], v[52:53]
	v_add_f64 v[46:47], v[52:53], -v[50:51]
	v_add_f64 v[50:51], v[62:63], v[60:61]
	v_mul_u32_u24_e32 v60, 0xee0, v96
	v_add_f64 v[66:67], v[34:35], v[76:77]
	v_fmac_f64_e32 v[68:69], s[20:21], v[32:33]
	v_add3_u32 v58, 0, v60, v58
	v_add_f64 v[32:33], v[70:71], v[66:67]
	v_add_f64 v[34:35], v[72:73], -v[68:69]
	v_add_f64 v[36:37], v[64:65], v[54:55]
	v_add_f64 v[40:41], v[44:45], -v[48:49]
	;; [unrolled: 2-line block ×3, first 2 shown]
	v_add_f64 v[52:53], v[66:67], -v[70:71]
	v_add_f64 v[54:55], v[68:69], v[72:73]
	ds_write_b128 v58, v[28:31]
	ds_write_b128 v58, v[32:35] offset:544
	ds_write_b128 v58, v[36:39] offset:1088
	;; [unrolled: 1-line block ×6, first 2 shown]
	s_and_saveexec_b64 s[28:29], vcc
	s_cbranch_execz .LBB0_25
; %bb.24:
	v_lshrrev_b16_e32 v64, 13, v57
	v_mul_lo_u16_e32 v28, 34, v64
	v_sub_u16_e32 v65, v56, v28
	v_mul_u32_u24_sdwa v28, v65, v59 dst_sel:DWORD dst_unused:UNUSED_PAD src0_sel:BYTE_0 src1_sel:DWORD
	v_lshlrev_b32_e32 v52, 4, v28
	global_load_dwordx4 v[28:31], v52, s[8:9] offset:320
	global_load_dwordx4 v[32:35], v52, s[8:9] offset:304
	;; [unrolled: 1-line block ×6, first 2 shown]
	s_waitcnt vmcnt(5)
	v_mul_f64 v[52:53], v[26:27], v[30:31]
	s_waitcnt vmcnt(4)
	v_mul_f64 v[54:55], v[22:23], v[34:35]
	s_waitcnt vmcnt(3)
	v_mul_f64 v[56:57], v[18:19], v[38:39]
	s_waitcnt vmcnt(2)
	v_mul_f64 v[58:59], v[6:7], v[42:43]
	s_waitcnt vmcnt(1)
	v_mul_f64 v[60:61], v[14:15], v[46:47]
	s_waitcnt vmcnt(0)
	v_mul_f64 v[62:63], v[2:3], v[50:51]
	v_mul_f64 v[38:39], v[16:17], v[38:39]
	v_mul_f64 v[42:43], v[4:5], v[42:43]
	;; [unrolled: 1-line block ×4, first 2 shown]
	v_fma_f64 v[16:17], v[16:17], v[36:37], -v[56:57]
	v_fma_f64 v[4:5], v[4:5], v[40:41], -v[58:59]
	;; [unrolled: 1-line block ×4, first 2 shown]
	v_mul_f64 v[34:35], v[20:21], v[34:35]
	v_mul_f64 v[30:31], v[24:25], v[30:31]
	v_fma_f64 v[24:25], v[24:25], v[28:29], -v[52:53]
	v_fma_f64 v[20:21], v[20:21], v[32:33], -v[54:55]
	v_fmac_f64_e32 v[38:39], v[18:19], v[36:37]
	v_fmac_f64_e32 v[42:43], v[6:7], v[40:41]
	v_fmac_f64_e32 v[46:47], v[14:15], v[44:45]
	v_add_f64 v[6:7], v[16:17], -v[4:5]
	v_add_f64 v[14:15], v[12:13], -v[0:1]
	v_add_f64 v[4:5], v[16:17], v[4:5]
	v_add_f64 v[0:1], v[12:13], v[0:1]
	v_fmac_f64_e32 v[34:35], v[22:23], v[32:33]
	v_fmac_f64_e32 v[30:31], v[26:27], v[28:29]
	;; [unrolled: 1-line block ×3, first 2 shown]
	v_add_f64 v[2:3], v[24:25], -v[20:21]
	v_add_f64 v[22:23], v[38:39], v[42:43]
	v_add_f64 v[20:21], v[20:21], v[24:25]
	v_add_f64 v[16:17], v[38:39], -v[42:43]
	v_add_f64 v[42:43], v[4:5], v[0:1]
	v_add_f64 v[18:19], v[34:35], v[30:31]
	;; [unrolled: 1-line block ×3, first 2 shown]
	v_add_f64 v[12:13], v[30:31], -v[34:35]
	v_add_f64 v[28:29], v[2:3], v[6:7]
	v_add_f64 v[30:31], v[2:3], -v[6:7]
	v_add_f64 v[38:39], v[20:21], -v[4:5]
	;; [unrolled: 1-line block ×4, first 2 shown]
	v_add_f64 v[20:21], v[20:21], v[42:43]
	v_add_f64 v[24:25], v[46:47], -v[50:51]
	v_add_f64 v[32:33], v[14:15], -v[2:3]
	;; [unrolled: 1-line block ×4, first 2 shown]
	v_add_f64 v[36:37], v[22:23], v[26:27]
	v_add_f64 v[44:45], v[12:13], v[16:17]
	v_add_f64 v[22:23], v[22:23], -v[26:27]
	v_add_f64 v[26:27], v[4:5], -v[0:1]
	v_add_f64 v[14:15], v[28:29], v[14:15]
	v_mul_f64 v[28:29], v[30:31], s[16:17]
	v_mul_f64 v[42:43], v[48:49], s[4:5]
	v_add_f64 v[0:1], v[8:9], v[20:21]
	v_add_f64 v[46:47], v[12:13], -v[16:17]
	v_mul_f64 v[4:5], v[34:35], s[10:11]
	v_add_f64 v[6:7], v[18:19], v[36:37]
	v_mul_f64 v[34:35], v[40:41], s[10:11]
	v_add_f64 v[36:37], v[44:45], v[24:25]
	v_fma_f64 v[44:45], s[26:27], v[32:33], v[28:29]
	v_fma_f64 v[32:33], v[32:33], s[24:25], -v[42:43]
	v_mov_b64_e32 v[42:43], v[0:1]
	v_mul_f64 v[30:31], v[2:3], s[12:13]
	v_mul_f64 v[40:41], v[46:47], s[16:17]
	v_fma_f64 v[46:47], s[12:13], v[2:3], v[4:5]
	v_add_f64 v[2:3], v[10:11], v[6:7]
	v_fma_f64 v[8:9], v[26:27], s[22:23], -v[34:35]
	v_fmac_f64_e32 v[42:43], s[14:15], v[20:21]
	v_add_f64 v[16:17], v[16:17], -v[24:25]
	v_add_f64 v[12:13], v[24:25], -v[12:13]
	v_fma_f64 v[10:11], s[12:13], v[38:39], v[34:35]
	v_mov_b64_e32 v[34:35], v[2:3]
	v_add_f64 v[52:53], v[8:9], v[42:43]
	v_mul_f64 v[8:9], v[16:17], s[4:5]
	v_mul_f64 v[18:19], v[38:39], s[12:13]
	v_fma_f64 v[38:39], s[26:27], v[12:13], v[40:41]
	v_fmac_f64_e32 v[34:35], s[14:15], v[6:7]
	v_fma_f64 v[24:25], v[12:13], s[24:25], -v[8:9]
	v_fma_f64 v[12:13], v[22:23], s[18:19], -v[30:31]
	;; [unrolled: 1-line block ×4, first 2 shown]
	v_add_f64 v[22:23], v[12:13], v[34:35]
	v_fmac_f64_e32 v[28:29], s[20:21], v[14:15]
	v_fmac_f64_e32 v[44:45], s[20:21], v[14:15]
	;; [unrolled: 1-line block ×3, first 2 shown]
	v_add_f64 v[14:15], v[22:23], -v[28:29]
	v_fma_f64 v[12:13], v[26:27], s[18:19], -v[18:19]
	v_add_f64 v[18:19], v[28:29], v[22:23]
	v_mov_b32_e32 v29, 4
	v_fma_f64 v[16:17], v[16:17], s[4:5], -v[40:41]
	v_mul_u32_u24_e32 v28, 0xee0, v64
	v_lshlrev_b32_sdwa v29, v29, v65 dst_sel:DWORD dst_unused:UNUSED_PAD src0_sel:DWORD src1_sel:BYTE_0
	v_fmac_f64_e32 v[38:39], s[20:21], v[36:37]
	v_add_f64 v[46:47], v[46:47], v[34:35]
	v_add_f64 v[50:51], v[10:11], v[42:43]
	;; [unrolled: 1-line block ×3, first 2 shown]
	v_fmac_f64_e32 v[24:25], s[20:21], v[36:37]
	v_fmac_f64_e32 v[16:17], s[20:21], v[36:37]
	v_add_f64 v[26:27], v[12:13], v[42:43]
	v_add3_u32 v28, 0, v28, v29
	v_add_f64 v[6:7], v[44:45], v[46:47]
	v_add_f64 v[4:5], v[50:51], -v[38:39]
	v_add_f64 v[10:11], v[32:33], v[20:21]
	v_add_f64 v[8:9], v[52:53], -v[24:25]
	;; [unrolled: 2-line block ×3, first 2 shown]
	v_add_f64 v[22:23], v[20:21], -v[32:33]
	v_add_f64 v[20:21], v[24:25], v[52:53]
	v_add_f64 v[26:27], v[46:47], -v[44:45]
	v_add_f64 v[24:25], v[38:39], v[50:51]
	ds_write_b128 v28, v[0:3]
	ds_write_b128 v28, v[24:27] offset:544
	ds_write_b128 v28, v[20:23] offset:1088
	;; [unrolled: 1-line block ×6, first 2 shown]
.LBB0_25:
	s_or_b64 exec, exec, s[28:29]
	v_mul_u32_u24_e32 v0, 5, v124
	v_lshlrev_b32_e32 v0, 4, v0
	s_waitcnt lgkmcnt(0)
	s_barrier
	global_load_dwordx4 v[2:5], v0, s[8:9] offset:3536
	global_load_dwordx4 v[6:9], v0, s[8:9] offset:3552
	;; [unrolled: 1-line block ×5, first 2 shown]
	v_mov_b32_e32 v1, 0
	s_mov_b64 s[4:5], 0x2530
	v_lshl_add_u64 v[22:23], s[8:9], 0, v[0:1]
	v_lshl_add_u64 v[42:43], v[22:23], 0, s[4:5]
	global_load_dwordx4 v[22:25], v[42:43], off offset:3536
	global_load_dwordx4 v[26:29], v[42:43], off offset:3552
	;; [unrolled: 1-line block ×5, first 2 shown]
	ds_read_b128 v[42:45], v125
	ds_read_b128 v[46:49], v127
	;; [unrolled: 1-line block ×3, first 2 shown]
	ds_read_b128 v[54:57], v242 offset:1904
	ds_read_b128 v[58:61], v242 offset:5712
	;; [unrolled: 1-line block ×9, first 2 shown]
	s_mov_b32 s8, 0xe8584caa
	s_mov_b32 s9, 0x3febb67a
	;; [unrolled: 1-line block ×4, first 2 shown]
	s_waitcnt lgkmcnt(0)
	s_barrier
	s_waitcnt vmcnt(9)
	v_mul_f64 v[90:91], v[44:45], v[4:5]
	v_mul_f64 v[92:93], v[42:43], v[4:5]
	s_waitcnt vmcnt(8)
	v_mul_f64 v[4:5], v[48:49], v[8:9]
	v_mul_f64 v[8:9], v[46:47], v[8:9]
	;; [unrolled: 3-line block ×3, first 2 shown]
	v_fmac_f64_e32 v[8:9], v[48:49], v[6:7]
	v_fmac_f64_e32 v[16:17], v[76:77], v[14:15]
	v_mul_f64 v[94:95], v[68:69], v[12:13]
	v_mul_f64 v[12:13], v[66:67], v[12:13]
	s_waitcnt vmcnt(5)
	v_mul_f64 v[98:99], v[84:85], v[20:21]
	v_mul_f64 v[20:21], v[82:83], v[20:21]
	v_fma_f64 v[42:43], v[42:43], v[2:3], -v[90:91]
	v_fmac_f64_e32 v[92:93], v[44:45], v[2:3]
	v_fma_f64 v[2:3], v[46:47], v[6:7], -v[4:5]
	v_fma_f64 v[6:7], v[74:75], v[14:15], -v[96:97]
	v_add_f64 v[74:75], v[8:9], -v[16:17]
	v_add_f64 v[76:77], v[52:53], v[8:9]
	v_add_f64 v[8:9], v[8:9], v[16:17]
	v_fma_f64 v[4:5], v[66:67], v[10:11], -v[94:95]
	v_fmac_f64_e32 v[12:13], v[68:69], v[10:11]
	v_fma_f64 v[10:11], v[82:83], v[18:19], -v[98:99]
	v_fmac_f64_e32 v[20:21], v[84:85], v[18:19]
	s_waitcnt vmcnt(4)
	v_mul_f64 v[14:15], v[60:61], v[24:25]
	v_mul_f64 v[44:45], v[58:59], v[24:25]
	s_waitcnt vmcnt(3)
	v_mul_f64 v[18:19], v[64:65], v[28:29]
	v_mul_f64 v[28:29], v[62:63], v[28:29]
	s_waitcnt vmcnt(2)
	v_mul_f64 v[24:25], v[72:73], v[32:33]
	v_add_f64 v[66:67], v[50:51], v[2:3]
	v_add_f64 v[68:69], v[2:3], v[6:7]
	v_fmac_f64_e32 v[52:53], -0.5, v[8:9]
	v_add_f64 v[2:3], v[2:3], -v[6:7]
	v_fmac_f64_e32 v[44:45], v[60:61], v[22:23]
	v_fma_f64 v[60:61], v[62:63], v[26:27], -v[18:19]
	v_fmac_f64_e32 v[28:29], v[64:65], v[26:27]
	v_fma_f64 v[26:27], v[70:71], v[30:31], -v[24:25]
	v_fma_f64 v[24:25], s[4:5], v[2:3], v[52:53]
	v_fmac_f64_e32 v[52:53], s[8:9], v[2:3]
	v_add_f64 v[2:3], v[42:43], v[4:5]
	v_fma_f64 v[58:59], v[58:59], v[22:23], -v[14:15]
	v_add_f64 v[22:23], v[2:3], v[10:11]
	v_add_f64 v[2:3], v[4:5], v[10:11]
	v_fmac_f64_e32 v[42:43], -0.5, v[2:3]
	v_add_f64 v[2:3], v[12:13], -v[20:21]
	v_mul_f64 v[32:33], v[70:71], v[32:33]
	s_waitcnt vmcnt(1)
	v_mul_f64 v[46:47], v[80:81], v[36:37]
	v_mul_f64 v[36:37], v[78:79], v[36:37]
	s_waitcnt vmcnt(0)
	v_mul_f64 v[48:49], v[88:89], v[40:41]
	v_mul_f64 v[40:41], v[86:87], v[40:41]
	v_fma_f64 v[8:9], s[8:9], v[2:3], v[42:43]
	v_fmac_f64_e32 v[42:43], s[4:5], v[2:3]
	v_add_f64 v[2:3], v[92:93], v[12:13]
	v_fmac_f64_e32 v[32:33], v[72:73], v[30:31]
	v_fma_f64 v[30:31], v[78:79], v[34:35], -v[46:47]
	v_fmac_f64_e32 v[36:37], v[80:81], v[34:35]
	v_fma_f64 v[34:35], v[86:87], v[38:39], -v[48:49]
	v_fmac_f64_e32 v[40:41], v[88:89], v[38:39]
	v_add_f64 v[38:39], v[2:3], v[20:21]
	v_add_f64 v[2:3], v[12:13], v[20:21]
	v_fmac_f64_e32 v[92:93], -0.5, v[2:3]
	v_add_f64 v[2:3], v[4:5], -v[10:11]
	v_fma_f64 v[12:13], s[4:5], v[2:3], v[92:93]
	v_fmac_f64_e32 v[92:93], s[8:9], v[2:3]
	v_mul_f64 v[62:63], v[92:93], -0.5
	v_fmac_f64_e32 v[50:51], -0.5, v[68:69]
	v_add_f64 v[16:17], v[76:77], v[16:17]
	v_mul_f64 v[46:47], v[42:43], -0.5
	v_fmac_f64_e32 v[62:63], s[4:5], v[42:43]
	v_add_f64 v[42:43], v[60:61], v[30:31]
	v_add_f64 v[14:15], v[66:67], v[6:7]
	v_fma_f64 v[18:19], s[8:9], v[74:75], v[50:51]
	v_fmac_f64_e32 v[50:51], s[4:5], v[74:75]
	v_fmac_f64_e32 v[46:47], s[8:9], v[92:93]
	v_add_f64 v[4:5], v[16:17], v[38:39]
	v_add_f64 v[16:17], v[16:17], -v[38:39]
	v_add_f64 v[38:39], v[54:55], v[60:61]
	v_fmac_f64_e32 v[54:55], -0.5, v[42:43]
	v_add_f64 v[42:43], v[28:29], -v[36:37]
	v_add_f64 v[2:3], v[14:15], v[22:23]
	v_add_f64 v[10:11], v[50:51], v[46:47]
	v_add_f64 v[14:15], v[14:15], -v[22:23]
	v_add_f64 v[22:23], v[50:51], -v[46:47]
	v_fma_f64 v[46:47], s[8:9], v[42:43], v[54:55]
	v_fmac_f64_e32 v[54:55], s[4:5], v[42:43]
	v_add_f64 v[42:43], v[56:57], v[28:29]
	v_add_f64 v[28:29], v[28:29], v[36:37]
	v_mul_f64 v[20:21], v[12:13], s[8:9]
	v_mul_f64 v[48:49], v[8:9], s[4:5]
	v_fmac_f64_e32 v[56:57], -0.5, v[28:29]
	v_add_f64 v[28:29], v[60:61], -v[30:31]
	v_fmac_f64_e32 v[20:21], 0.5, v[8:9]
	v_fmac_f64_e32 v[48:49], 0.5, v[12:13]
	v_fma_f64 v[50:51], s[4:5], v[28:29], v[56:57]
	v_fmac_f64_e32 v[56:57], s[8:9], v[28:29]
	v_add_f64 v[28:29], v[58:59], v[26:27]
	v_add_f64 v[6:7], v[18:19], v[20:21]
	;; [unrolled: 1-line block ×3, first 2 shown]
	v_add_f64 v[18:19], v[18:19], -v[20:21]
	v_add_f64 v[20:21], v[24:25], -v[48:49]
	v_add_f64 v[48:49], v[42:43], v[36:37]
	v_add_f64 v[42:43], v[28:29], v[34:35]
	;; [unrolled: 1-line block ×3, first 2 shown]
	v_fmac_f64_e32 v[58:59], -0.5, v[28:29]
	v_add_f64 v[28:29], v[32:33], -v[40:41]
	v_fma_f64 v[36:37], s[8:9], v[28:29], v[58:59]
	v_fmac_f64_e32 v[58:59], s[4:5], v[28:29]
	v_add_f64 v[28:29], v[44:45], v[32:33]
	v_add_f64 v[12:13], v[52:53], v[62:63]
	v_add_f64 v[24:25], v[52:53], -v[62:63]
	v_add_f64 v[52:53], v[28:29], v[40:41]
	v_add_f64 v[28:29], v[32:33], v[40:41]
	v_fmac_f64_e32 v[44:45], -0.5, v[28:29]
	v_add_f64 v[26:27], v[26:27], -v[34:35]
	v_fma_f64 v[32:33], s[4:5], v[26:27], v[44:45]
	v_fmac_f64_e32 v[44:45], s[8:9], v[26:27]
	v_mul_f64 v[40:41], v[32:33], s[8:9]
	v_mul_f64 v[60:61], v[58:59], -0.5
	v_mul_f64 v[62:63], v[36:37], s[4:5]
	v_mul_f64 v[64:65], v[44:45], -0.5
	v_add_f64 v[38:39], v[38:39], v[30:31]
	v_fmac_f64_e32 v[40:41], 0.5, v[36:37]
	v_fmac_f64_e32 v[60:61], s[8:9], v[44:45]
	v_fmac_f64_e32 v[62:63], 0.5, v[32:33]
	v_fmac_f64_e32 v[64:65], s[4:5], v[58:59]
	v_add_f64 v[26:27], v[38:39], v[42:43]
	v_add_f64 v[30:31], v[46:47], v[40:41]
	v_add_f64 v[34:35], v[54:55], v[60:61]
	v_add_f64 v[28:29], v[48:49], v[52:53]
	v_add_f64 v[32:33], v[50:51], v[62:63]
	v_add_f64 v[36:37], v[56:57], v[64:65]
	v_add_f64 v[38:39], v[38:39], -v[42:43]
	v_add_f64 v[42:43], v[46:47], -v[40:41]
	;; [unrolled: 1-line block ×6, first 2 shown]
	ds_write_b128 v242, v[2:5]
	ds_write_b128 v242, v[6:9] offset:3808
	ds_write_b128 v242, v[10:13] offset:7616
	;; [unrolled: 1-line block ×11, first 2 shown]
	s_waitcnt lgkmcnt(0)
	s_barrier
	s_and_saveexec_b64 s[4:5], s[0:1]
	s_cbranch_execz .LBB0_27
; %bb.26:
	v_mul_lo_u32 v0, s3, v122
	v_mul_lo_u32 v2, s2, v123
	v_mad_u64_u32 v[6:7], s[0:1], s2, v122, 0
	v_add3_u32 v7, v7, v2, v0
	v_lshl_add_u32 v14, v124, 4, 0
	ds_read_b128 v[2:5], v14
	v_lshl_add_u64 v[6:7], v[6:7], 4, s[6:7]
	v_lshl_add_u64 v[10:11], v[120:121], 4, v[6:7]
	ds_read_b128 v[6:9], v14 offset:1904
	v_mov_b32_e32 v125, v1
	v_lshl_add_u64 v[12:13], v[124:125], 4, v[10:11]
	v_add_u32_e32 v0, 0x77, v124
	s_waitcnt lgkmcnt(1)
	global_store_dwordx4 v[12:13], v[2:5], off
	v_lshl_add_u64 v[12:13], v[0:1], 4, v[10:11]
	ds_read_b128 v[2:5], v14 offset:3808
	s_waitcnt lgkmcnt(1)
	global_store_dwordx4 v[12:13], v[6:9], off
	ds_read_b128 v[6:9], v14 offset:5712
	v_add_u32_e32 v0, 0xee, v124
	v_lshl_add_u64 v[12:13], v[0:1], 4, v[10:11]
	v_add_u32_e32 v0, 0x165, v124
	s_waitcnt lgkmcnt(1)
	global_store_dwordx4 v[12:13], v[2:5], off
	v_lshl_add_u64 v[12:13], v[0:1], 4, v[10:11]
	ds_read_b128 v[2:5], v14 offset:7616
	s_waitcnt lgkmcnt(1)
	global_store_dwordx4 v[12:13], v[6:9], off
	ds_read_b128 v[6:9], v14 offset:9520
	v_add_u32_e32 v0, 0x1dc, v124
	;; [unrolled: 10-line block ×5, first 2 shown]
	v_lshl_add_u64 v[12:13], v[0:1], 4, v[10:11]
	v_add_u32_e32 v0, 0x51d, v124
	v_lshl_add_u64 v[0:1], v[0:1], 4, v[10:11]
	s_waitcnt lgkmcnt(1)
	global_store_dwordx4 v[12:13], v[2:5], off
	s_waitcnt lgkmcnt(0)
	global_store_dwordx4 v[0:1], v[6:9], off
.LBB0_27:
	s_endpgm
	.section	.rodata,"a",@progbits
	.p2align	6, 0x0
	.amdhsa_kernel fft_rtc_fwd_len1428_factors_17_2_7_6_wgs_119_tpt_119_halfLds_dp_op_CI_CI_unitstride_sbrr_C2R_dirReg
		.amdhsa_group_segment_fixed_size 0
		.amdhsa_private_segment_fixed_size 0
		.amdhsa_kernarg_size 104
		.amdhsa_user_sgpr_count 2
		.amdhsa_user_sgpr_dispatch_ptr 0
		.amdhsa_user_sgpr_queue_ptr 0
		.amdhsa_user_sgpr_kernarg_segment_ptr 1
		.amdhsa_user_sgpr_dispatch_id 0
		.amdhsa_user_sgpr_kernarg_preload_length 0
		.amdhsa_user_sgpr_kernarg_preload_offset 0
		.amdhsa_user_sgpr_private_segment_size 0
		.amdhsa_uses_dynamic_stack 0
		.amdhsa_enable_private_segment 0
		.amdhsa_system_sgpr_workgroup_id_x 1
		.amdhsa_system_sgpr_workgroup_id_y 0
		.amdhsa_system_sgpr_workgroup_id_z 0
		.amdhsa_system_sgpr_workgroup_info 0
		.amdhsa_system_vgpr_workitem_id 0
		.amdhsa_next_free_vgpr 276
		.amdhsa_next_free_sgpr 60
		.amdhsa_accum_offset 256
		.amdhsa_reserve_vcc 1
		.amdhsa_float_round_mode_32 0
		.amdhsa_float_round_mode_16_64 0
		.amdhsa_float_denorm_mode_32 3
		.amdhsa_float_denorm_mode_16_64 3
		.amdhsa_dx10_clamp 1
		.amdhsa_ieee_mode 1
		.amdhsa_fp16_overflow 0
		.amdhsa_tg_split 0
		.amdhsa_exception_fp_ieee_invalid_op 0
		.amdhsa_exception_fp_denorm_src 0
		.amdhsa_exception_fp_ieee_div_zero 0
		.amdhsa_exception_fp_ieee_overflow 0
		.amdhsa_exception_fp_ieee_underflow 0
		.amdhsa_exception_fp_ieee_inexact 0
		.amdhsa_exception_int_div_zero 0
	.end_amdhsa_kernel
	.text
.Lfunc_end0:
	.size	fft_rtc_fwd_len1428_factors_17_2_7_6_wgs_119_tpt_119_halfLds_dp_op_CI_CI_unitstride_sbrr_C2R_dirReg, .Lfunc_end0-fft_rtc_fwd_len1428_factors_17_2_7_6_wgs_119_tpt_119_halfLds_dp_op_CI_CI_unitstride_sbrr_C2R_dirReg
                                        ; -- End function
	.section	.AMDGPU.csdata,"",@progbits
; Kernel info:
; codeLenInByte = 14480
; NumSgprs: 66
; NumVgprs: 256
; NumAgprs: 20
; TotalNumVgprs: 276
; ScratchSize: 0
; MemoryBound: 0
; FloatMode: 240
; IeeeMode: 1
; LDSByteSize: 0 bytes/workgroup (compile time only)
; SGPRBlocks: 8
; VGPRBlocks: 34
; NumSGPRsForWavesPerEU: 66
; NumVGPRsForWavesPerEU: 276
; AccumOffset: 256
; Occupancy: 1
; WaveLimiterHint : 1
; COMPUTE_PGM_RSRC2:SCRATCH_EN: 0
; COMPUTE_PGM_RSRC2:USER_SGPR: 2
; COMPUTE_PGM_RSRC2:TRAP_HANDLER: 0
; COMPUTE_PGM_RSRC2:TGID_X_EN: 1
; COMPUTE_PGM_RSRC2:TGID_Y_EN: 0
; COMPUTE_PGM_RSRC2:TGID_Z_EN: 0
; COMPUTE_PGM_RSRC2:TIDIG_COMP_CNT: 0
; COMPUTE_PGM_RSRC3_GFX90A:ACCUM_OFFSET: 63
; COMPUTE_PGM_RSRC3_GFX90A:TG_SPLIT: 0
	.text
	.p2alignl 6, 3212836864
	.fill 256, 4, 3212836864
	.type	__hip_cuid_d099f5917924957d,@object ; @__hip_cuid_d099f5917924957d
	.section	.bss,"aw",@nobits
	.globl	__hip_cuid_d099f5917924957d
__hip_cuid_d099f5917924957d:
	.byte	0                               ; 0x0
	.size	__hip_cuid_d099f5917924957d, 1

	.ident	"AMD clang version 19.0.0git (https://github.com/RadeonOpenCompute/llvm-project roc-6.4.0 25133 c7fe45cf4b819c5991fe208aaa96edf142730f1d)"
	.section	".note.GNU-stack","",@progbits
	.addrsig
	.addrsig_sym __hip_cuid_d099f5917924957d
	.amdgpu_metadata
---
amdhsa.kernels:
  - .agpr_count:     20
    .args:
      - .actual_access:  read_only
        .address_space:  global
        .offset:         0
        .size:           8
        .value_kind:     global_buffer
      - .offset:         8
        .size:           8
        .value_kind:     by_value
      - .actual_access:  read_only
        .address_space:  global
        .offset:         16
        .size:           8
        .value_kind:     global_buffer
      - .actual_access:  read_only
        .address_space:  global
        .offset:         24
        .size:           8
        .value_kind:     global_buffer
      - .actual_access:  read_only
        .address_space:  global
        .offset:         32
        .size:           8
        .value_kind:     global_buffer
      - .offset:         40
        .size:           8
        .value_kind:     by_value
      - .actual_access:  read_only
        .address_space:  global
        .offset:         48
        .size:           8
        .value_kind:     global_buffer
      - .actual_access:  read_only
        .address_space:  global
        .offset:         56
        .size:           8
        .value_kind:     global_buffer
      - .offset:         64
        .size:           4
        .value_kind:     by_value
      - .actual_access:  read_only
        .address_space:  global
        .offset:         72
        .size:           8
        .value_kind:     global_buffer
      - .actual_access:  read_only
        .address_space:  global
        .offset:         80
        .size:           8
        .value_kind:     global_buffer
      - .actual_access:  read_only
        .address_space:  global
        .offset:         88
        .size:           8
        .value_kind:     global_buffer
      - .actual_access:  write_only
        .address_space:  global
        .offset:         96
        .size:           8
        .value_kind:     global_buffer
    .group_segment_fixed_size: 0
    .kernarg_segment_align: 8
    .kernarg_segment_size: 104
    .language:       OpenCL C
    .language_version:
      - 2
      - 0
    .max_flat_workgroup_size: 119
    .name:           fft_rtc_fwd_len1428_factors_17_2_7_6_wgs_119_tpt_119_halfLds_dp_op_CI_CI_unitstride_sbrr_C2R_dirReg
    .private_segment_fixed_size: 0
    .sgpr_count:     66
    .sgpr_spill_count: 0
    .symbol:         fft_rtc_fwd_len1428_factors_17_2_7_6_wgs_119_tpt_119_halfLds_dp_op_CI_CI_unitstride_sbrr_C2R_dirReg.kd
    .uniform_work_group_size: 1
    .uses_dynamic_stack: false
    .vgpr_count:     276
    .vgpr_spill_count: 0
    .wavefront_size: 64
amdhsa.target:   amdgcn-amd-amdhsa--gfx950
amdhsa.version:
  - 1
  - 2
...

	.end_amdgpu_metadata
